;; amdgpu-corpus repo=ROCm/rocFFT kind=compiled arch=gfx1030 opt=O3
	.text
	.amdgcn_target "amdgcn-amd-amdhsa--gfx1030"
	.amdhsa_code_object_version 6
	.protected	fft_rtc_back_len1105_factors_17_13_5_wgs_255_tpt_85_halfLds_half_ip_CI_sbrr_dirReg ; -- Begin function fft_rtc_back_len1105_factors_17_13_5_wgs_255_tpt_85_halfLds_half_ip_CI_sbrr_dirReg
	.globl	fft_rtc_back_len1105_factors_17_13_5_wgs_255_tpt_85_halfLds_half_ip_CI_sbrr_dirReg
	.p2align	8
	.type	fft_rtc_back_len1105_factors_17_13_5_wgs_255_tpt_85_halfLds_half_ip_CI_sbrr_dirReg,@function
fft_rtc_back_len1105_factors_17_13_5_wgs_255_tpt_85_halfLds_half_ip_CI_sbrr_dirReg: ; @fft_rtc_back_len1105_factors_17_13_5_wgs_255_tpt_85_halfLds_half_ip_CI_sbrr_dirReg
; %bb.0:
	s_clause 0x1
	s_load_dwordx2 s[14:15], s[4:5], 0x18
	s_load_dwordx4 s[8:11], s[4:5], 0x0
	v_mul_u32_u24_e32 v1, 0x304, v0
	v_mov_b32_e32 v5, 0
	v_mov_b32_e32 v3, 0
	v_mov_b32_e32 v4, 0
	s_load_dwordx2 s[12:13], s[4:5], 0x50
	s_waitcnt lgkmcnt(0)
	s_load_dwordx2 s[2:3], s[14:15], 0x0
	v_lshrrev_b32_e32 v1, 16, v1
	v_cmp_lt_u64_e64 s0, s[10:11], 2
	v_mad_u64_u32 v[1:2], null, s6, 3, v[1:2]
	v_mov_b32_e32 v2, v5
	s_and_b32 vcc_lo, exec_lo, s0
	v_mov_b32_e32 v10, v2
	v_mov_b32_e32 v9, v1
	s_cbranch_vccnz .LBB0_8
; %bb.1:
	s_load_dwordx2 s[0:1], s[4:5], 0x10
	v_mov_b32_e32 v3, 0
	v_mov_b32_e32 v8, v2
	s_add_u32 s6, s14, 8
	v_mov_b32_e32 v4, 0
	v_mov_b32_e32 v7, v1
	s_addc_u32 s7, s15, 0
	s_mov_b64 s[18:19], 1
	s_waitcnt lgkmcnt(0)
	s_add_u32 s16, s0, 8
	s_addc_u32 s17, s1, 0
.LBB0_2:                                ; =>This Inner Loop Header: Depth=1
	s_load_dwordx2 s[20:21], s[16:17], 0x0
                                        ; implicit-def: $vgpr9_vgpr10
	s_mov_b32 s0, exec_lo
	s_waitcnt lgkmcnt(0)
	v_or_b32_e32 v6, s21, v8
	v_cmpx_ne_u64_e32 0, v[5:6]
	s_xor_b32 s1, exec_lo, s0
	s_cbranch_execz .LBB0_4
; %bb.3:                                ;   in Loop: Header=BB0_2 Depth=1
	v_cvt_f32_u32_e32 v2, s20
	v_cvt_f32_u32_e32 v6, s21
	s_sub_u32 s0, 0, s20
	s_subb_u32 s22, 0, s21
	v_fmac_f32_e32 v2, 0x4f800000, v6
	v_rcp_f32_e32 v2, v2
	v_mul_f32_e32 v2, 0x5f7ffffc, v2
	v_mul_f32_e32 v6, 0x2f800000, v2
	v_trunc_f32_e32 v6, v6
	v_fmac_f32_e32 v2, 0xcf800000, v6
	v_cvt_u32_f32_e32 v6, v6
	v_cvt_u32_f32_e32 v2, v2
	v_mul_lo_u32 v9, s0, v6
	v_mul_hi_u32 v10, s0, v2
	v_mul_lo_u32 v11, s22, v2
	v_add_nc_u32_e32 v9, v10, v9
	v_mul_lo_u32 v10, s0, v2
	v_add_nc_u32_e32 v9, v9, v11
	v_mul_hi_u32 v11, v2, v10
	v_mul_lo_u32 v12, v2, v9
	v_mul_hi_u32 v13, v2, v9
	v_mul_hi_u32 v14, v6, v10
	v_mul_lo_u32 v10, v6, v10
	v_mul_hi_u32 v15, v6, v9
	v_mul_lo_u32 v9, v6, v9
	v_add_co_u32 v11, vcc_lo, v11, v12
	v_add_co_ci_u32_e32 v12, vcc_lo, 0, v13, vcc_lo
	v_add_co_u32 v10, vcc_lo, v11, v10
	v_add_co_ci_u32_e32 v10, vcc_lo, v12, v14, vcc_lo
	v_add_co_ci_u32_e32 v11, vcc_lo, 0, v15, vcc_lo
	v_add_co_u32 v9, vcc_lo, v10, v9
	v_add_co_ci_u32_e32 v10, vcc_lo, 0, v11, vcc_lo
	v_add_co_u32 v2, vcc_lo, v2, v9
	v_add_co_ci_u32_e32 v6, vcc_lo, v6, v10, vcc_lo
	v_mul_hi_u32 v9, s0, v2
	v_mul_lo_u32 v11, s22, v2
	v_mul_lo_u32 v10, s0, v6
	v_add_nc_u32_e32 v9, v9, v10
	v_mul_lo_u32 v10, s0, v2
	v_add_nc_u32_e32 v9, v9, v11
	v_mul_hi_u32 v11, v2, v10
	v_mul_lo_u32 v12, v2, v9
	v_mul_hi_u32 v13, v2, v9
	v_mul_hi_u32 v14, v6, v10
	v_mul_lo_u32 v10, v6, v10
	v_mul_hi_u32 v15, v6, v9
	v_mul_lo_u32 v9, v6, v9
	v_add_co_u32 v11, vcc_lo, v11, v12
	v_add_co_ci_u32_e32 v12, vcc_lo, 0, v13, vcc_lo
	v_add_co_u32 v10, vcc_lo, v11, v10
	v_add_co_ci_u32_e32 v10, vcc_lo, v12, v14, vcc_lo
	v_add_co_ci_u32_e32 v11, vcc_lo, 0, v15, vcc_lo
	v_add_co_u32 v9, vcc_lo, v10, v9
	v_add_co_ci_u32_e32 v10, vcc_lo, 0, v11, vcc_lo
	v_add_co_u32 v2, vcc_lo, v2, v9
	v_add_co_ci_u32_e32 v6, vcc_lo, v6, v10, vcc_lo
	v_mul_hi_u32 v15, v7, v2
	v_mad_u64_u32 v[11:12], null, v8, v2, 0
	v_mad_u64_u32 v[9:10], null, v7, v6, 0
	v_mad_u64_u32 v[13:14], null, v8, v6, 0
	v_add_co_u32 v2, vcc_lo, v15, v9
	v_add_co_ci_u32_e32 v6, vcc_lo, 0, v10, vcc_lo
	v_add_co_u32 v2, vcc_lo, v2, v11
	v_add_co_ci_u32_e32 v2, vcc_lo, v6, v12, vcc_lo
	v_add_co_ci_u32_e32 v6, vcc_lo, 0, v14, vcc_lo
	v_add_co_u32 v2, vcc_lo, v2, v13
	v_add_co_ci_u32_e32 v6, vcc_lo, 0, v6, vcc_lo
	v_mul_lo_u32 v11, s21, v2
	v_mad_u64_u32 v[9:10], null, s20, v2, 0
	v_mul_lo_u32 v12, s20, v6
	v_sub_co_u32 v9, vcc_lo, v7, v9
	v_add3_u32 v10, v10, v12, v11
	v_sub_nc_u32_e32 v11, v8, v10
	v_subrev_co_ci_u32_e64 v11, s0, s21, v11, vcc_lo
	v_add_co_u32 v12, s0, v2, 2
	v_add_co_ci_u32_e64 v13, s0, 0, v6, s0
	v_sub_co_u32 v14, s0, v9, s20
	v_sub_co_ci_u32_e32 v10, vcc_lo, v8, v10, vcc_lo
	v_subrev_co_ci_u32_e64 v11, s0, 0, v11, s0
	v_cmp_le_u32_e32 vcc_lo, s20, v14
	v_cmp_eq_u32_e64 s0, s21, v10
	v_cndmask_b32_e64 v14, 0, -1, vcc_lo
	v_cmp_le_u32_e32 vcc_lo, s21, v11
	v_cndmask_b32_e64 v15, 0, -1, vcc_lo
	v_cmp_le_u32_e32 vcc_lo, s20, v9
	;; [unrolled: 2-line block ×3, first 2 shown]
	v_cndmask_b32_e64 v16, 0, -1, vcc_lo
	v_cmp_eq_u32_e32 vcc_lo, s21, v11
	v_cndmask_b32_e64 v9, v16, v9, s0
	v_cndmask_b32_e32 v11, v15, v14, vcc_lo
	v_add_co_u32 v14, vcc_lo, v2, 1
	v_add_co_ci_u32_e32 v15, vcc_lo, 0, v6, vcc_lo
	v_cmp_ne_u32_e32 vcc_lo, 0, v11
	v_cndmask_b32_e32 v10, v15, v13, vcc_lo
	v_cndmask_b32_e32 v11, v14, v12, vcc_lo
	v_cmp_ne_u32_e32 vcc_lo, 0, v9
	v_cndmask_b32_e32 v10, v6, v10, vcc_lo
	v_cndmask_b32_e32 v9, v2, v11, vcc_lo
.LBB0_4:                                ;   in Loop: Header=BB0_2 Depth=1
	s_andn2_saveexec_b32 s0, s1
	s_cbranch_execz .LBB0_6
; %bb.5:                                ;   in Loop: Header=BB0_2 Depth=1
	v_cvt_f32_u32_e32 v2, s20
	s_sub_i32 s1, 0, s20
	v_rcp_iflag_f32_e32 v2, v2
	v_mul_f32_e32 v2, 0x4f7ffffe, v2
	v_cvt_u32_f32_e32 v2, v2
	v_mul_lo_u32 v6, s1, v2
	v_mul_hi_u32 v6, v2, v6
	v_add_nc_u32_e32 v2, v2, v6
	v_mul_hi_u32 v2, v7, v2
	v_mul_lo_u32 v6, v2, s20
	v_add_nc_u32_e32 v9, 1, v2
	v_sub_nc_u32_e32 v6, v7, v6
	v_subrev_nc_u32_e32 v10, s20, v6
	v_cmp_le_u32_e32 vcc_lo, s20, v6
	v_cndmask_b32_e32 v6, v6, v10, vcc_lo
	v_cndmask_b32_e32 v2, v2, v9, vcc_lo
	v_mov_b32_e32 v10, v5
	v_cmp_le_u32_e32 vcc_lo, s20, v6
	v_add_nc_u32_e32 v9, 1, v2
	v_cndmask_b32_e32 v9, v2, v9, vcc_lo
.LBB0_6:                                ;   in Loop: Header=BB0_2 Depth=1
	s_or_b32 exec_lo, exec_lo, s0
	s_load_dwordx2 s[0:1], s[6:7], 0x0
	v_mul_lo_u32 v2, v10, s20
	v_mul_lo_u32 v6, v9, s21
	v_mad_u64_u32 v[11:12], null, v9, s20, 0
	s_add_u32 s18, s18, 1
	s_addc_u32 s19, s19, 0
	s_add_u32 s6, s6, 8
	s_addc_u32 s7, s7, 0
	s_add_u32 s16, s16, 8
	s_addc_u32 s17, s17, 0
	v_add3_u32 v2, v12, v6, v2
	v_sub_co_u32 v6, vcc_lo, v7, v11
	v_sub_co_ci_u32_e32 v2, vcc_lo, v8, v2, vcc_lo
	s_waitcnt lgkmcnt(0)
	v_mul_lo_u32 v7, s1, v6
	v_mul_lo_u32 v2, s0, v2
	v_mad_u64_u32 v[3:4], null, s0, v6, v[3:4]
	v_cmp_ge_u64_e64 s0, s[18:19], s[10:11]
	s_and_b32 vcc_lo, exec_lo, s0
	v_add3_u32 v4, v7, v4, v2
	s_cbranch_vccnz .LBB0_8
; %bb.7:                                ;   in Loop: Header=BB0_2 Depth=1
	v_mov_b32_e32 v7, v9
	v_mov_b32_e32 v8, v10
	s_branch .LBB0_2
.LBB0_8:
	s_lshl_b64 s[0:1], s[10:11], 3
	v_mul_hi_u32 v5, 0x3030304, v0
	s_add_u32 s0, s14, s0
	s_addc_u32 s1, s15, s1
	v_mov_b32_e32 v33, 0
	s_load_dwordx2 s[0:1], s[0:1], 0x0
	s_load_dwordx2 s[4:5], s[4:5], 0x20
                                        ; implicit-def: $vgpr38
                                        ; implicit-def: $vgpr15
                                        ; implicit-def: $vgpr37
                                        ; implicit-def: $vgpr16
                                        ; implicit-def: $vgpr36
                                        ; implicit-def: $vgpr13
                                        ; implicit-def: $vgpr35
                                        ; implicit-def: $vgpr14
                                        ; implicit-def: $vgpr34
                                        ; implicit-def: $vgpr12
                                        ; implicit-def: $vgpr32
                                        ; implicit-def: $vgpr31
                                        ; implicit-def: $vgpr29
                                        ; implicit-def: $vgpr17
                                        ; implicit-def: $vgpr40
                                        ; implicit-def: $vgpr39
                                        ; implicit-def: $vgpr24
                                        ; implicit-def: $vgpr23
                                        ; implicit-def: $vgpr25
                                        ; implicit-def: $vgpr22
                                        ; implicit-def: $vgpr26
                                        ; implicit-def: $vgpr21
                                        ; implicit-def: $vgpr27
                                        ; implicit-def: $vgpr20
                                        ; implicit-def: $vgpr28
                                        ; implicit-def: $vgpr19
                                        ; implicit-def: $vgpr30
                                        ; implicit-def: $vgpr18
	s_waitcnt lgkmcnt(0)
	v_mul_lo_u32 v6, s0, v10
	v_mul_lo_u32 v7, s1, v9
	v_mad_u64_u32 v[2:3], null, s0, v9, v[3:4]
	v_mul_u32_u24_e32 v4, 0x55, v5
	v_cmp_gt_u64_e32 vcc_lo, s[4:5], v[9:10]
                                        ; implicit-def: $vgpr10
                                        ; implicit-def: $vgpr5
	v_sub_nc_u32_e32 v11, v0, v4
	v_add3_u32 v3, v7, v3, v6
	v_mov_b32_e32 v0, 0
                                        ; implicit-def: $vgpr4
                                        ; implicit-def: $vgpr6
	v_cmp_gt_u32_e64 s0, 0x41, v11
	v_lshlrev_b64 v[7:8], 2, v[2:3]
	s_and_b32 s1, vcc_lo, s0
	s_and_saveexec_b32 s4, s1
	s_cbranch_execz .LBB0_10
; %bb.9:
	v_add_nc_u32_e32 v12, 0x41, v11
	v_mad_u64_u32 v[2:3], null, s2, v11, 0
	v_add_nc_u32_e32 v15, 0x82, v11
	v_add_nc_u32_e32 v17, 0xc3, v11
	v_mad_u64_u32 v[4:5], null, s2, v12, 0
	v_add_nc_u32_e32 v21, 0x145, v11
	v_mad_u64_u32 v[9:10], null, s2, v15, 0
	v_mov_b32_e32 v0, v3
	v_add_nc_u32_e32 v24, 0x186, v11
	v_add_nc_u32_e32 v26, 0x1c7, v11
	v_mov_b32_e32 v3, v5
	v_add_nc_u32_e32 v28, 0x208, v11
	v_mad_u64_u32 v[5:6], null, s3, v11, v[0:1]
	v_mov_b32_e32 v0, v10
	v_mad_u64_u32 v[12:13], null, s3, v12, v[3:4]
	v_mad_u64_u32 v[13:14], null, s2, v17, 0
	;; [unrolled: 1-line block ×3, first 2 shown]
	v_mov_b32_e32 v3, v5
	v_add_co_u32 v6, s1, s12, v7
	v_mov_b32_e32 v5, v12
	v_add_nc_u32_e32 v12, 0x104, v11
	v_mov_b32_e32 v0, v14
	v_mov_b32_e32 v10, v15
	v_lshlrev_b64 v[2:3], 2, v[2:3]
	v_add_co_ci_u32_e64 v40, s1, s13, v8, s1
	v_mad_u64_u32 v[15:16], null, s2, v12, 0
	v_mad_u64_u32 v[17:18], null, s3, v17, v[0:1]
	v_lshlrev_b64 v[4:5], 2, v[4:5]
	v_add_co_u32 v2, s1, v6, v2
	v_lshlrev_b64 v[9:10], 2, v[9:10]
	v_mov_b32_e32 v0, v16
	v_add_co_ci_u32_e64 v3, s1, v40, v3, s1
	v_mov_b32_e32 v14, v17
	v_mad_u64_u32 v[17:18], null, s2, v21, 0
	v_mad_u64_u32 v[19:20], null, s3, v12, v[0:1]
	v_add_co_u32 v4, s1, v6, v4
	v_lshlrev_b64 v[12:13], 2, v[13:14]
	v_add_co_ci_u32_e64 v5, s1, v40, v5, s1
	v_mov_b32_e32 v0, v18
	v_mov_b32_e32 v16, v19
	v_mad_u64_u32 v[19:20], null, s2, v24, 0
	v_add_co_u32 v9, s1, v6, v9
	v_mad_u64_u32 v[21:22], null, s3, v21, v[0:1]
	v_mad_u64_u32 v[22:23], null, s2, v26, 0
	v_mov_b32_e32 v0, v20
	v_lshlrev_b64 v[14:15], 2, v[15:16]
	v_add_co_ci_u32_e64 v10, s1, v40, v10, s1
	v_add_co_u32 v12, s1, v6, v12
	v_mov_b32_e32 v18, v21
	v_mad_u64_u32 v[20:21], null, s3, v24, v[0:1]
	v_mov_b32_e32 v0, v23
	v_add_co_ci_u32_e64 v13, s1, v40, v13, s1
	v_add_co_u32 v24, s1, v6, v14
	v_add_co_ci_u32_e64 v25, s1, v40, v15, s1
	v_lshlrev_b64 v[14:15], 2, v[17:18]
	v_mad_u64_u32 v[16:17], null, s3, v26, v[0:1]
	v_mad_u64_u32 v[17:18], null, s2, v28, 0
	v_add_nc_u32_e32 v31, 0x249, v11
	v_add_co_u32 v26, s1, v6, v14
	v_add_co_ci_u32_e64 v27, s1, v40, v15, s1
	v_mov_b32_e32 v23, v16
	v_lshlrev_b64 v[14:15], 2, v[19:20]
	v_mad_u64_u32 v[19:20], null, s2, v31, 0
	v_mov_b32_e32 v0, v18
	v_lshlrev_b64 v[21:22], 2, v[22:23]
	v_add_nc_u32_e32 v33, 0x28a, v11
	v_mad_u64_u32 v[28:29], null, s3, v28, v[0:1]
	v_add_co_u32 v29, s1, v6, v14
	v_mov_b32_e32 v0, v20
	v_add_co_ci_u32_e64 v30, s1, v40, v15, s1
	v_add_co_u32 v20, s1, v6, v21
	v_add_co_ci_u32_e64 v21, s1, v40, v22, s1
	v_mad_u64_u32 v[22:23], null, s3, v31, v[0:1]
	s_clause 0x7
	global_load_dword v0, v[2:3], off
	global_load_dword v15, v[4:5], off
	global_load_dword v16, v[9:10], off
	global_load_dword v13, v[12:13], off
	global_load_dword v14, v[24:25], off
	global_load_dword v12, v[26:27], off
	global_load_dword v10, v[29:30], off
	global_load_dword v5, v[20:21], off
	v_mad_u64_u32 v[31:32], null, s2, v33, 0
	v_mov_b32_e32 v18, v28
	v_add_nc_u32_e32 v23, 0x2cb, v11
	v_add_nc_u32_e32 v9, 0x30c, v11
	v_mov_b32_e32 v20, v22
	v_add_nc_u32_e32 v30, 0x34d, v11
	v_lshlrev_b64 v[2:3], 2, v[17:18]
	v_mov_b32_e32 v4, v32
	v_mad_u64_u32 v[17:18], null, s2, v23, 0
	v_add_co_u32 v2, s1, v6, v2
	v_add_co_ci_u32_e64 v3, s1, v40, v3, s1
	s_waitcnt vmcnt(0)
	v_mad_u64_u32 v[21:22], null, s3, v33, v[4:5]
	v_mov_b32_e32 v4, v18
	v_lshlrev_b64 v[18:19], 2, v[19:20]
	v_add_nc_u32_e32 v33, 0x38e, v11
	v_mov_b32_e32 v32, v21
	v_mad_u64_u32 v[20:21], null, s3, v23, v[4:5]
	v_mad_u64_u32 v[21:22], null, s2, v9, 0
	v_add_co_u32 v23, s1, v6, v18
	v_add_co_ci_u32_e64 v24, s1, v40, v19, s1
	v_mov_b32_e32 v18, v20
	v_mad_u64_u32 v[19:20], null, s2, v30, 0
	v_mov_b32_e32 v4, v22
	v_lshlrev_b64 v[25:26], 2, v[31:32]
	v_lshlrev_b64 v[17:18], 2, v[17:18]
	v_mad_u64_u32 v[27:28], null, s3, v9, v[4:5]
	v_mad_u64_u32 v[28:29], null, s2, v33, 0
	v_mov_b32_e32 v4, v20
	v_add_nc_u32_e32 v9, 0x3cf, v11
	v_add_co_u32 v25, s1, v6, v25
	v_mov_b32_e32 v22, v27
	v_mad_u64_u32 v[30:31], null, s3, v30, v[4:5]
	v_mov_b32_e32 v4, v29
	v_add_nc_u32_e32 v27, 0x410, v11
	v_mad_u64_u32 v[31:32], null, s2, v9, 0
	v_add_co_ci_u32_e64 v26, s1, v40, v26, s1
	v_mad_u64_u32 v[33:34], null, s3, v33, v[4:5]
	v_mad_u64_u32 v[34:35], null, s2, v27, 0
	v_add_co_u32 v36, s1, v6, v17
	v_mov_b32_e32 v4, v32
	v_add_co_ci_u32_e64 v37, s1, v40, v18, s1
	v_lshlrev_b64 v[17:18], 2, v[21:22]
	v_mov_b32_e32 v20, v30
	v_mad_u64_u32 v[21:22], null, s3, v9, v[4:5]
	v_mov_b32_e32 v4, v35
	v_mov_b32_e32 v29, v33
	v_add_co_u32 v38, s1, v6, v17
	v_add_co_ci_u32_e64 v39, s1, v40, v18, s1
	v_lshlrev_b64 v[17:18], 2, v[19:20]
	v_mad_u64_u32 v[19:20], null, s3, v27, v[4:5]
	v_mov_b32_e32 v32, v21
	v_lshlrev_b64 v[27:28], 2, v[28:29]
	v_add_co_u32 v29, s1, v6, v17
	v_add_co_ci_u32_e64 v30, s1, v40, v18, s1
	v_mov_b32_e32 v35, v19
	v_lshlrev_b64 v[17:18], 2, v[31:32]
	v_add_co_u32 v27, s1, v6, v27
	v_add_co_ci_u32_e64 v28, s1, v40, v28, s1
	v_lshlrev_b64 v[19:20], 2, v[34:35]
	v_add_co_u32 v31, s1, v6, v17
	v_add_co_ci_u32_e64 v32, s1, v40, v18, s1
	v_lshrrev_b32_e32 v35, 16, v14
	v_add_co_u32 v33, s1, v6, v19
	v_add_co_ci_u32_e64 v34, s1, v40, v20, s1
	s_clause 0x8
	global_load_dword v17, v[2:3], off
	global_load_dword v18, v[23:24], off
	;; [unrolled: 1-line block ×9, first 2 shown]
	v_lshrrev_b32_e32 v33, 16, v0
	v_lshrrev_b32_e32 v38, 16, v15
	;; [unrolled: 1-line block ×7, first 2 shown]
	s_waitcnt vmcnt(8)
	v_lshrrev_b32_e32 v29, 16, v17
	s_waitcnt vmcnt(7)
	v_lshrrev_b32_e32 v30, 16, v18
	;; [unrolled: 2-line block ×9, first 2 shown]
.LBB0_10:
	s_or_b32 exec_lo, exec_lo, s4
	v_sub_f16_e32 v48, v38, v4
	v_add_f16_e32 v49, v15, v40
	v_sub_f16_e32 v47, v37, v6
	v_add_f16_e32 v52, v16, v39
	v_sub_f16_e32 v50, v36, v24
	v_pk_mul_f16 v43, 0xbb29bbf7, v48 op_sel_hi:[1,0]
	v_add_f16_e32 v51, v13, v23
	v_pk_mul_f16 v44, 0xba62b1e1, v47 op_sel_hi:[1,0]
	v_sub_f16_e32 v54, v35, v25
	v_pk_mul_f16 v45, 0x31e13bb2, v50 op_sel_hi:[1,0]
	v_pk_fma_f16 v3, 0x37222de8, v49, v43 op_sel_hi:[1,0,1] neg_lo:[0,0,1] neg_hi:[0,0,1]
	v_add_f16_e32 v53, v14, v22
	v_pk_fma_f16 v9, 0xb8d2bbdd, v52, v44 op_sel_hi:[1,0,1] neg_lo:[0,0,1] neg_hi:[0,0,1]
	v_sub_f16_e32 v56, v34, v26
	v_pk_mul_f16 v46, 0x3bb235c8, v54 op_sel_hi:[1,0]
	v_pk_add_f16 v3, v0, v3 op_sel_hi:[0,1]
	v_pk_fma_f16 v41, 0xbbddb461, v51, v45 op_sel_hi:[1,0,1] neg_lo:[0,0,1] neg_hi:[0,0,1]
	v_mul_hi_u32 v2, 0xaaaaaaab, v1
	v_add_f16_e32 v55, v12, v21
	v_sub_f16_e32 v58, v32, v27
	v_pk_add_f16 v3, v3, v9
	v_pk_mul_f16 v42, 0x3964bb29, v56 op_sel_hi:[1,0]
	v_pk_fma_f16 v9, 0xb4613b76, v53, v46 op_sel_hi:[1,0,1] neg_lo:[0,0,1] neg_hi:[0,0,1]
	v_add_f16_e32 v57, v10, v20
	v_sub_f16_e32 v59, v31, v28
	v_pk_add_f16 v3, v3, v41
	v_pk_mul_f16 v41, 0xb5c8b836, v58 op_sel_hi:[1,0]
	v_lshrrev_b32_e32 v2, 1, v2
	v_pk_fma_f16 v61, 0x39e93722, v55, v42 op_sel_hi:[1,0,1] neg_lo:[0,0,1] neg_hi:[0,0,1]
	v_add_f16_e32 v60, v5, v19
	v_pk_add_f16 v9, v3, v9
	v_pk_mul_f16 v3, 0xbbf73a62, v59 op_sel_hi:[1,0]
	v_pk_fma_f16 v63, 0x3b76bacd, v57, v41 op_sel_hi:[1,0,1] neg_lo:[0,0,1] neg_hi:[0,0,1]
	v_lshl_add_u32 v2, v2, 1, v2
	v_add_f16_e32 v62, v17, v18
	v_pk_add_f16 v9, v9, v61
	v_sub_f16_e32 v61, v29, v30
	v_pk_fma_f16 v64, 0x2de8b8d2, v60, v3 op_sel_hi:[1,0,1] neg_lo:[0,0,1] neg_hi:[0,0,1]
	v_sub_nc_u32_e32 v2, v1, v2
	v_pk_add_f16 v9, v9, v63
	v_pk_mul_f16 v1, 0xb8363964, v61 op_sel_hi:[1,0]
	v_mul_u32_u24_e32 v2, 0x451, v2
	v_pk_add_f16 v63, v9, v64
	v_pk_fma_f16 v64, 0xbacd39e9, v62, v1 op_sel_hi:[1,0,1] neg_lo:[0,0,1] neg_hi:[0,0,1]
	v_lshlrev_b32_e32 v9, 1, v2
	v_pk_add_f16 v2, v63, v64
	s_and_saveexec_b32 s1, s0
	s_cbranch_execz .LBB0_12
; %bb.11:
	v_pack_b32_f16 v63, v49, v49
	v_pk_mul_f16 v49, 0x37222de8, v49 op_sel_hi:[1,0]
	v_add_f16_e32 v64, v0, v15
	v_pack_b32_f16 v48, v48, v48
	v_perm_b32 v0, v0, v0, 0x5040100
	v_pack_b32_f16 v65, v52, v52
	v_pk_mul_f16 v52, 0xb8d2bbdd, v52 op_sel_hi:[1,0]
	v_pk_add_f16 v43, v43, v49
	v_pack_b32_f16 v47, v47, v47
	v_pack_b32_f16 v66, v51, v51
	v_pk_mul_f16 v51, 0xbbddb461, v51 op_sel_hi:[1,0]
	v_pk_mul_f16 v72, 0xb1e1b836, v48
	v_pk_mul_f16 v80, 0xba62bbb2, v48
	;; [unrolled: 1-line block ×3, first 2 shown]
	v_pk_add_f16 v43, v0, v43
	v_pk_add_f16 v44, v44, v52
	v_pack_b32_f16 v50, v50, v50
	v_pack_b32_f16 v67, v53, v53
	v_pk_mul_f16 v53, 0xb4613b76, v53 op_sel_hi:[1,0]
	v_pk_mul_f16 v73, 0x35c83b29, v47
	v_pk_mul_f16 v81, 0x3bb23836, v47
	v_pk_fma_f16 v88, 0x39e93b76, v63, v48
	v_pk_mul_f16 v47, 0xbbf7b964, v47
	v_pk_add_f16 v43, v43, v44
	v_pk_add_f16 v44, v45, v51
	v_pack_b32_f16 v54, v54, v54
	v_pack_b32_f16 v68, v55, v55
	v_pk_mul_f16 v55, 0x39e93722, v55 op_sel_hi:[1,0]
	v_pack_b32_f16 v58, v58, v58
	v_pk_mul_f16 v74, 0xb836bbf7, v50
	v_pk_mul_f16 v82, 0xb5c83964, v50
	;; [unrolled: 1-line block ×3, first 2 shown]
	v_pk_add_f16 v88, v0, v88
	v_pk_fma_f16 v89, 0x2de839e9, v65, v47
	v_pk_add_f16 v43, v43, v44
	v_pk_add_f16 v44, v46, v53
	v_pack_b32_f16 v56, v56, v56
	v_pack_b32_f16 v59, v59, v59
	v_pk_mul_f16 v75, 0x39643a62, v54
	v_pk_mul_f16 v77, 0x3b29b1e1, v58
	;; [unrolled: 1-line block ×6, first 2 shown]
	v_pk_add_f16 v58, v88, v89
	v_pk_fma_f16 v88, 0xb8d23722, v66, v50
	v_pk_fma_f16 v53, 0xb8d2b461, v63, v80
	v_pk_add_f16 v43, v43, v44
	v_pk_add_f16 v42, v42, v55
	v_pack_b32_f16 v69, v57, v57
	v_pk_mul_f16 v57, 0x3b76bacd, v57 op_sel_hi:[1,0]
	v_pk_mul_f16 v76, 0xba62b5c8, v56
	v_pk_mul_f16 v78, 0xbbb23964, v59
	;; [unrolled: 1-line block ×6, first 2 shown]
	v_pk_add_f16 v58, v58, v88
	v_pk_fma_f16 v59, 0xbbdd2de8, v67, v54
	v_pk_add_f16 v44, v0, v53
	v_pk_fma_f16 v53, 0xb461bacd, v65, v81
	;; [unrolled: 2-line block ×3, first 2 shown]
	v_add_f16_e32 v64, v64, v16
	v_pack_b32_f16 v70, v60, v60
	v_pk_mul_f16 v60, 0x2de8b8d2, v60 op_sel_hi:[1,0]
	v_pk_add_f16 v51, v58, v59
	v_pk_fma_f16 v58, 0xbacdb461, v68, v56
	v_pk_add_f16 v41, v41, v57
	v_pk_add_f16 v44, v44, v53
	v_pk_fma_f16 v53, 0x3b7639e9, v66, v82
	v_pk_add_f16 v43, v0, v43
	v_pk_fma_f16 v57, 0x3b763722, v65, v73
	v_add_f16_e32 v64, v64, v13
	v_pack_b32_f16 v61, v61, v61
	v_pk_add_f16 v51, v51, v58
	v_pk_fma_f16 v58, 0xb461b8d2, v69, v49
	v_pk_add_f16 v41, v42, v41
	v_pk_add_f16 v42, v44, v53
	v_pk_fma_f16 v44, 0xbacd3722, v67, v83
	v_pk_add_f16 v3, v3, v60
	v_pk_add_f16 v43, v43, v57
	v_pk_fma_f16 v53, 0xbacd2de8, v66, v74
	v_add_f16_e32 v64, v64, v14
	v_pack_b32_f16 v71, v62, v62
	v_pk_mul_f16 v62, 0xbacd39e9, v62 op_sel_hi:[1,0]
	v_pk_mul_f16 v45, 0x35c8b1e1, v61
	v_pk_add_f16 v51, v51, v58
	v_pk_fma_f16 v55, 0x3722bacd, v70, v52
	v_pk_add_f16 v42, v42, v44
	v_pk_fma_f16 v44, 0x2de8bbdd, v68, v84
	v_pk_add_f16 v3, v41, v3
	v_pk_add_f16 v41, v43, v53
	v_pk_fma_f16 v43, 0x39e9b8d2, v67, v75
	v_add_f16_e32 v64, v64, v12
	v_pk_add_f16 v51, v51, v55
	v_pk_add_f16 v1, v1, v62
	;; [unrolled: 1-line block ×3, first 2 shown]
	v_pk_fma_f16 v44, 0x39e92de8, v69, v85
	v_pk_fma_f16 v53, 0x3b76bbdd, v71, v45
	v_pk_add_f16 v43, v41, v43
	v_pk_fma_f16 v55, 0xb8d23b76, v68, v76
	v_add_f16_e32 v64, v64, v10
	v_pk_add_f16 v1, v3, v1
	v_pk_add_f16 v3, v42, v44
	v_pk_fma_f16 v44, 0xbbdd3b76, v70, v86
	v_pk_add_f16 v41, v51, v53
	v_pk_add_f16 v43, v43, v55
	v_pk_fma_f16 v51, 0x3722bbdd, v69, v77
	v_add_f16_e32 v64, v64, v5
	v_alignbit_b32 v42, v1, v1, 16
	v_pk_add_f16 v1, v3, v44
	v_pk_fma_f16 v44, 0xbbddbacd, v63, v72 neg_lo:[0,0,1] neg_hi:[0,0,1]
	v_pk_add_f16 v43, v43, v51
	v_pk_fma_f16 v51, 0xb8d2b461, v63, v80 neg_lo:[0,0,1] neg_hi:[0,0,1]
	v_pk_fma_f16 v48, 0x39e93b76, v63, v48 neg_lo:[0,0,1] neg_hi:[0,0,1]
	v_add_f16_e32 v64, v64, v17
	v_pk_add_f16 v44, v0, v44
	v_pk_fma_f16 v55, 0x3b763722, v65, v73 neg_lo:[0,0,1] neg_hi:[0,0,1]
	v_pk_add_f16 v51, v0, v51
	v_pk_fma_f16 v57, 0xb461bacd, v65, v81 neg_lo:[0,0,1] neg_hi:[0,0,1]
	v_pk_add_f16 v0, v0, v48
	v_pk_fma_f16 v47, 0x2de839e9, v65, v47 neg_lo:[0,0,1] neg_hi:[0,0,1]
	v_add_f16_e32 v64, v64, v18
	v_pk_add_f16 v44, v44, v55
	v_pk_fma_f16 v48, 0xbacd2de8, v66, v74 neg_lo:[0,0,1] neg_hi:[0,0,1]
	v_pk_add_f16 v51, v51, v57
	v_pk_fma_f16 v55, 0x3b7639e9, v66, v82 neg_lo:[0,0,1] neg_hi:[0,0,1]
	v_pk_add_f16 v0, v0, v47
	;; [unrolled: 7-line block ×5, first 2 shown]
	v_pk_fma_f16 v47, 0xb461b8d2, v69, v49 neg_lo:[0,0,1] neg_hi:[0,0,1]
	v_add_f16_e32 v64, v22, v64
	v_pk_mul_f16 v79, 0x3bf7bbb2, v61
	v_pk_mul_f16 v87, 0x3b29ba62, v61
	v_pk_add_f16 v44, v44, v48
	v_pk_fma_f16 v48, 0xb46139e9, v70, v78 neg_lo:[0,0,1] neg_hi:[0,0,1]
	v_pk_add_f16 v49, v50, v51
	v_pk_fma_f16 v50, 0xbbdd3b76, v70, v86 neg_lo:[0,0,1] neg_hi:[0,0,1]
	;; [unrolled: 2-line block ×3, first 2 shown]
	v_add_f16_e32 v64, v23, v64
	v_pk_fma_f16 v53, 0xb46139e9, v70, v78
	v_pk_add_f16 v44, v44, v48
	v_pk_fma_f16 v48, 0x2de8b461, v71, v79 neg_lo:[0,0,1] neg_hi:[0,0,1]
	v_pk_add_f16 v49, v49, v50
	v_pk_fma_f16 v50, 0x3722b8d2, v71, v87 neg_lo:[0,0,1] neg_hi:[0,0,1]
	;; [unrolled: 2-line block ×3, first 2 shown]
	v_add_f16_e32 v64, v39, v64
	v_mul_u32_u24_e32 v46, 34, v11
	v_pk_fma_f16 v3, 0x3722b8d2, v71, v87
	v_pk_add_f16 v47, v43, v53
	v_pk_fma_f16 v51, 0x2de8b461, v71, v79
	v_pk_add_f16 v48, v44, v48
	v_pk_add_f16 v49, v49, v50
	;; [unrolled: 1-line block ×3, first 2 shown]
	v_add_f16_e32 v59, v40, v64
	v_add3_u32 v46, 0, v46, v9
	v_pk_add_f16 v43, v1, v3
	v_pk_add_f16 v44, v47, v51
	v_alignbit_b32 v0, v48, v48, 16
	v_alignbit_b32 v1, v49, v49, 16
	;; [unrolled: 1-line block ×3, first 2 shown]
	ds_write_b16 v46, v59
	ds_write_b128 v46, v[41:44] offset:2
	ds_write_b128 v46, v[0:3] offset:18
.LBB0_12:
	s_or_b32 exec_lo, exec_lo, s1
	v_sub_f16_e32 v53, v15, v40
	v_add_f16_e32 v47, v38, v4
	v_sub_f16_e32 v51, v16, v39
	v_add_f16_e32 v48, v37, v6
	v_sub_f16_e32 v56, v13, v23
	v_pk_mul_f16 v46, 0xbb29bbf7, v53 op_sel_hi:[1,0]
	v_add_f16_e32 v49, v36, v24
	v_pk_mul_f16 v42, 0xba62b1e1, v51 op_sel_hi:[1,0]
	v_sub_f16_e32 v55, v14, v22
	v_pk_mul_f16 v39, 0x31e13bb2, v56 op_sel_hi:[1,0]
	v_pk_fma_f16 v0, 0x37222de8, v47, v46 op_sel_hi:[1,0,1]
	v_add_f16_e32 v50, v35, v25
	v_pk_fma_f16 v1, 0xb8d2bbdd, v48, v42 op_sel_hi:[1,0,1]
	v_sub_f16_e32 v58, v12, v21
	v_pk_mul_f16 v40, 0x3bb235c8, v55 op_sel_hi:[1,0]
	v_pk_add_f16 v0, v33, v0 op_sel_hi:[0,1]
	v_pk_fma_f16 v3, 0xbbddb461, v49, v39 op_sel_hi:[1,0,1]
	v_add_f16_e32 v52, v34, v26
	v_sub_f16_e32 v60, v5, v19
	v_pk_mul_f16 v41, 0x3964bb29, v58 op_sel_hi:[1,0]
	v_pk_add_f16 v0, v0, v1
	v_pk_fma_f16 v1, 0xb4613b76, v50, v40 op_sel_hi:[1,0,1]
	v_lshlrev_b32_e32 v5, 1, v11
	v_sub_f16_e32 v59, v10, v20
	v_pk_fma_f16 v10, 0x39e93722, v52, v41 op_sel_hi:[1,0,1]
	v_pk_add_f16 v0, v0, v3
	v_sub_f16_e32 v61, v17, v18
	v_add_nc_u32_e32 v3, 0, v5
	s_waitcnt lgkmcnt(0)
	s_barrier
	v_pk_add_f16 v0, v0, v1
	v_add3_u32 v1, 0, v9, v5
	buffer_gl0_inv
	v_add_f16_e32 v54, v32, v27
	v_pk_mul_f16 v44, 0xb5c8b836, v59 op_sel_hi:[1,0]
	v_pk_add_f16 v45, v0, v10
	v_add_nc_u32_e32 v0, v3, v9
	v_add_f16_e32 v57, v31, v28
	v_pk_mul_f16 v43, 0xbbf73a62, v60 op_sel_hi:[1,0]
	ds_read_u16 v10, v1
	ds_read_u16 v23, v0 offset:170
	ds_read_u16 v22, v0 offset:340
	;; [unrolled: 1-line block ×12, first 2 shown]
	v_pk_fma_f16 v5, 0x3b76bacd, v54, v44 op_sel_hi:[1,0,1]
	v_add_f16_e32 v62, v29, v30
	v_pk_fma_f16 v63, 0x2de8b8d2, v57, v43 op_sel_hi:[1,0,1]
	s_waitcnt lgkmcnt(0)
	s_barrier
	v_pk_add_f16 v5, v45, v5
	v_pk_mul_f16 v45, 0xb8363964, v61 op_sel_hi:[1,0]
	buffer_gl0_inv
	v_pk_add_f16 v5, v5, v63
	v_pk_fma_f16 v63, 0xbacd39e9, v62, v45 op_sel_hi:[1,0,1]
	v_pk_add_f16 v5, v5, v63
	s_and_saveexec_b32 s1, s0
	s_cbranch_execz .LBB0_14
; %bb.13:
	v_add_f16_e32 v38, v33, v38
	v_pack_b32_f16 v53, v53, v53
	v_pack_b32_f16 v63, v47, v47
	;; [unrolled: 1-line block ×4, first 2 shown]
	v_add_f16_e32 v37, v38, v37
	v_pack_b32_f16 v38, v51, v51
	v_perm_b32 v33, v33, v33, 0x5040100
	v_pack_b32_f16 v64, v48, v48
	v_pack_b32_f16 v56, v56, v56
	v_add_f16_e32 v36, v37, v36
	v_pack_b32_f16 v37, v55, v55
	v_pack_b32_f16 v55, v52, v52
	;; [unrolled: 1-line block ×4, first 2 shown]
	v_add_f16_e32 v35, v36, v35
	v_pack_b32_f16 v36, v59, v59
	v_pack_b32_f16 v59, v57, v57
	v_pk_mul_f16 v47, 0x37222de8, v47 op_sel_hi:[1,0]
	v_pack_b32_f16 v58, v58, v58
	v_add_f16_e32 v34, v35, v34
	v_pack_b32_f16 v35, v61, v61
	v_pk_mul_f16 v61, 0xbbf7b964, v38
	v_pack_b32_f16 v60, v60, v60
	v_pk_mul_f16 v68, 0x3836bbb2, v58
	v_add_f16_e32 v32, v34, v32
	v_pk_mul_f16 v34, 0xb4613b76, v50 op_sel_hi:[1,0]
	v_pk_mul_f16 v50, 0x39e93722, v52 op_sel_hi:[1,0]
	v_pk_mul_f16 v52, 0x3b76bacd, v54 op_sel_hi:[1,0]
	v_pk_mul_f16 v54, 0x2de8b8d2, v57 op_sel_hi:[1,0]
	v_add_f16_e32 v31, v32, v31
	v_pk_mul_f16 v57, 0xb964b5c8, v53
	v_pk_mul_f16 v32, 0xbacd39e9, v62 op_sel_hi:[1,0]
	v_pk_mul_f16 v62, 0xba62bb29, v56
	v_pk_fma_f16 v72, 0x2de839e9, v64, v61 neg_lo:[0,0,1] neg_hi:[0,0,1]
	v_add_f16_e32 v29, v31, v29
	v_pk_fma_f16 v70, 0x39e93b76, v63, v57 neg_lo:[0,0,1] neg_hi:[0,0,1]
	v_pk_mul_f16 v31, 0xb1e1bbf7, v37
	v_pk_fma_f16 v61, 0x2de839e9, v64, v61
	v_pk_mul_f16 v69, 0x3bb2ba62, v36
	v_add_f16_e32 v29, v29, v30
	v_pk_add_f16 v70, v33, v70
	v_pk_mul_f16 v30, 0x3b29b836, v60
	v_pk_mul_f16 v48, 0xb8d2bbdd, v48 op_sel_hi:[1,0]
	v_pk_mul_f16 v49, 0xbbddb461, v49 op_sel_hi:[1,0]
	v_add_f16_e32 v28, v28, v29
	v_pk_add_f16 v29, v47, v46 neg_lo:[0,1] neg_hi:[0,1]
	v_pk_fma_f16 v46, 0xb8d23722, v51, v62 neg_lo:[0,0,1] neg_hi:[0,0,1]
	v_pk_fma_f16 v47, 0x39e93b76, v63, v57
	v_pk_add_f16 v57, v70, v72
	v_add_f16_e32 v27, v27, v28
	v_pk_fma_f16 v28, 0xbbdd2de8, v65, v31 neg_lo:[0,0,1] neg_hi:[0,0,1]
	v_pk_fma_f16 v31, 0xbbdd2de8, v65, v31
	v_pk_add_f16 v47, v33, v47
	v_pk_add_f16 v46, v57, v46
	v_add_f16_e32 v26, v26, v27
	v_pk_fma_f16 v27, 0xbacdb461, v55, v68 neg_lo:[0,0,1] neg_hi:[0,0,1]
	v_pk_fma_f16 v57, 0xb8d23722, v51, v62
	v_pk_add_f16 v47, v47, v61
	v_pk_add_f16 v28, v46, v28
	v_add_f16_e32 v25, v25, v26
	v_pk_fma_f16 v26, 0xb461b8d2, v66, v69 neg_lo:[0,0,1] neg_hi:[0,0,1]
	v_pk_mul_f16 v71, 0x35c8b1e1, v35
	v_pk_add_f16 v46, v47, v57
	v_pk_add_f16 v27, v28, v27
	v_add_f16_e32 v24, v24, v25
	v_pk_fma_f16 v25, 0x3722bacd, v59, v30 neg_lo:[0,0,1] neg_hi:[0,0,1]
	v_pk_fma_f16 v28, 0xbacdb461, v55, v68
	v_pk_add_f16 v31, v46, v31
	v_pk_add_f16 v26, v27, v26
	v_add_f16_e32 v6, v6, v24
	v_pk_fma_f16 v30, 0x3722bacd, v59, v30
	v_pk_mul_f16 v27, 0xba62bbb2, v53
	v_pk_add_f16 v28, v31, v28
	v_pk_add_f16 v25, v26, v25
	v_add_f16_e32 v31, v4, v6
	v_pk_add_f16 v6, v33, v29
	v_pk_add_f16 v26, v48, v42 neg_lo:[0,1] neg_hi:[0,1]
	v_pk_fma_f16 v4, 0xb461b8d2, v66, v69
	v_pk_fma_f16 v24, 0x3b76bbdd, v67, v71 neg_lo:[0,0,1] neg_hi:[0,0,1]
	v_pk_mul_f16 v29, 0x3bb23836, v38
	v_pk_mul_f16 v38, 0x35c83b29, v38
	v_pk_add_f16 v6, v6, v26
	v_pk_add_f16 v26, v49, v39 neg_lo:[0,1] neg_hi:[0,1]
	v_pk_add_f16 v4, v28, v4
	v_pk_add_f16 v24, v25, v24
	v_pk_fma_f16 v25, 0xb8d2b461, v63, v27 neg_lo:[0,0,1] neg_hi:[0,0,1]
	v_pk_fma_f16 v27, 0xb8d2b461, v63, v27
	v_pk_add_f16 v6, v6, v26
	v_pk_add_f16 v26, v34, v40 neg_lo:[0,1] neg_hi:[0,1]
	v_pk_add_f16 v4, v4, v30
	v_pk_fma_f16 v40, 0x3b76bbdd, v67, v71
	v_pk_fma_f16 v28, 0xb461bacd, v64, v29 neg_lo:[0,0,1] neg_hi:[0,0,1]
	v_pk_mul_f16 v39, 0xb5c83964, v56
	v_pk_add_f16 v6, v6, v26
	v_pk_add_f16 v26, v50, v41 neg_lo:[0,1] neg_hi:[0,1]
	v_pk_add_f16 v40, v4, v40
	v_pk_add_f16 v27, v33, v27
	v_pk_fma_f16 v29, 0xb461bacd, v64, v29
	v_pk_add_f16 v25, v33, v25
	v_pk_add_f16 v6, v6, v26
	v_pk_add_f16 v26, v52, v44 neg_lo:[0,1] neg_hi:[0,1]
	v_pk_mul_f16 v34, 0xb836bb29, v37
	v_pk_add_f16 v27, v27, v29
	v_pk_fma_f16 v29, 0x3b7639e9, v51, v39
	v_pk_add_f16 v25, v25, v28
	v_pk_add_f16 v4, v6, v26
	v_pk_add_f16 v6, v54, v43 neg_lo:[0,1] neg_hi:[0,1]
	v_pk_fma_f16 v28, 0x3b7639e9, v51, v39 neg_lo:[0,0,1] neg_hi:[0,0,1]
	v_pk_add_f16 v27, v27, v29
	v_pk_mul_f16 v42, 0xb836bbf7, v56
	v_pk_mul_f16 v30, 0x3bf7b1e1, v58
	v_pk_add_f16 v4, v4, v6
	v_pk_add_f16 v6, v32, v45 neg_lo:[0,1] neg_hi:[0,1]
	v_pk_add_f16 v25, v25, v28
	v_pk_fma_f16 v28, 0xbacd3722, v65, v34 neg_lo:[0,0,1] neg_hi:[0,0,1]
	v_pk_fma_f16 v34, 0xbacd3722, v65, v34
	v_pk_mul_f16 v37, 0x39643a62, v37
	v_pk_add_f16 v4, v4, v6
	v_pk_mul_f16 v6, 0xb1e1b836, v53
	v_pk_add_f16 v25, v25, v28
	v_pk_fma_f16 v28, 0x2de8bbdd, v55, v30 neg_lo:[0,0,1] neg_hi:[0,0,1]
	v_pk_mul_f16 v41, 0xb9643bf7, v36
	v_pk_add_f16 v27, v27, v34
	v_pk_fma_f16 v32, 0xbbddbacd, v63, v6 neg_lo:[0,0,1] neg_hi:[0,0,1]
	v_pk_fma_f16 v6, 0xbbddbacd, v63, v6
	v_pk_mul_f16 v34, 0xba62b5c8, v58
	v_pk_add_f16 v25, v25, v28
	v_pk_fma_f16 v26, 0x39e92de8, v66, v41 neg_lo:[0,0,1] neg_hi:[0,0,1]
	v_pk_add_f16 v29, v33, v32
	v_pk_fma_f16 v32, 0x3b763722, v64, v38 neg_lo:[0,0,1] neg_hi:[0,0,1]
	v_pk_add_f16 v6, v33, v6
	v_pk_fma_f16 v33, 0x3b763722, v64, v38
	v_pk_mul_f16 v28, 0xb1e1b5c8, v60
	v_pk_fma_f16 v30, 0x2de8bbdd, v55, v30
	v_pk_add_f16 v29, v29, v32
	v_pk_fma_f16 v32, 0xbacd2de8, v51, v42 neg_lo:[0,0,1] neg_hi:[0,0,1]
	v_pk_add_f16 v6, v6, v33
	v_pk_fma_f16 v33, 0xbacd2de8, v51, v42
	v_pk_mul_f16 v36, 0x3b29b1e1, v36
	v_pk_add_f16 v25, v25, v26
	v_pk_add_f16 v29, v29, v32
	v_pk_fma_f16 v32, 0x39e9b8d2, v65, v37 neg_lo:[0,0,1] neg_hi:[0,0,1]
	v_pk_add_f16 v6, v6, v33
	v_pk_fma_f16 v33, 0x39e9b8d2, v65, v37
	v_pk_fma_f16 v26, 0xbbdd3b76, v59, v28 neg_lo:[0,0,1] neg_hi:[0,0,1]
	v_pk_add_f16 v27, v27, v30
	v_pk_add_f16 v29, v29, v32
	v_pk_fma_f16 v32, 0xb8d23b76, v55, v34 neg_lo:[0,0,1] neg_hi:[0,0,1]
	v_pk_add_f16 v6, v6, v33
	v_pk_fma_f16 v33, 0xb8d23b76, v55, v34
	v_pk_fma_f16 v30, 0x39e92de8, v66, v41
	v_pk_mul_f16 v34, 0xbbb23964, v60
	v_pk_add_f16 v29, v29, v32
	v_pk_fma_f16 v32, 0x3722bbdd, v66, v36 neg_lo:[0,0,1] neg_hi:[0,0,1]
	v_pk_add_f16 v6, v6, v33
	v_pk_fma_f16 v33, 0x3722bbdd, v66, v36
	v_pk_add_f16 v25, v25, v26
	v_pk_mul_f16 v26, 0x3b29ba62, v35
	v_pk_add_f16 v27, v27, v30
	v_pk_fma_f16 v28, 0xbbdd3b76, v59, v28
	v_pk_add_f16 v29, v29, v32
	v_pk_add_f16 v6, v6, v33
	v_pk_fma_f16 v30, 0xb46139e9, v59, v34
	v_pk_mul_f16 v32, 0x3bf7bbb2, v35
	v_pk_fma_f16 v33, 0xb46139e9, v59, v34 neg_lo:[0,0,1] neg_hi:[0,0,1]
	v_pk_add_f16 v27, v27, v28
	v_pk_fma_f16 v28, 0x3722b8d2, v67, v26
	v_pk_add_f16 v6, v6, v30
	v_pk_fma_f16 v30, 0x2de8b461, v67, v32
	v_pk_add_f16 v29, v29, v33
	v_pk_fma_f16 v32, 0x2de8b461, v67, v32 neg_lo:[0,0,1] neg_hi:[0,0,1]
	v_lshlrev_b32_e32 v33, 5, v11
	v_pk_fma_f16 v39, 0x3722b8d2, v67, v26 neg_lo:[0,0,1] neg_hi:[0,0,1]
	v_pk_add_f16 v6, v6, v30
	v_pk_add_f16 v28, v27, v28
	;; [unrolled: 1-line block ×3, first 2 shown]
	v_add3_u32 v29, v3, v33, v9
	v_pk_add_f16 v26, v25, v39
	v_alignbit_b32 v25, v4, v4, 16
	v_alignbit_b32 v3, v6, v6, 16
	;; [unrolled: 1-line block ×4, first 2 shown]
	ds_write_b16 v29, v31
	ds_write_b128 v29, v[24:27] offset:2
	ds_write_b128 v29, v[3:6] offset:18
.LBB0_14:
	s_or_b32 exec_lo, exec_lo, s1
	v_and_b32_e32 v3, 0xff, v11
	v_mov_b32_e32 v6, 12
	s_waitcnt lgkmcnt(0)
	s_barrier
	buffer_gl0_inv
	v_mul_lo_u16 v3, 0xf1, v3
	v_cmp_gt_u32_e64 s0, 51, v11
	v_lshrrev_b16 v3, 12, v3
	v_mul_lo_u16 v4, v3, 17
	v_and_b32_e32 v3, 0xffff, v3
	v_sub_nc_u16 v4, v11, v4
	v_mad_u32_u24 v3, 0x1ba, v3, 0
	v_mul_u32_u24_sdwa v6, v4, v6 dst_sel:DWORD dst_unused:UNUSED_PAD src0_sel:BYTE_0 src1_sel:DWORD
	v_lshlrev_b32_e32 v6, 2, v6
	s_clause 0x2
	global_load_dwordx4 v[31:34], v6, s[8:9]
	global_load_dwordx4 v[45:48], v6, s[8:9] offset:16
	global_load_dwordx4 v[49:52], v6, s[8:9] offset:32
	v_mov_b32_e32 v6, 1
	ds_read_u16 v36, v0 offset:170
	ds_read_u16 v38, v0 offset:340
	;; [unrolled: 1-line block ×7, first 2 shown]
	v_lshlrev_b32_sdwa v4, v6, v4 dst_sel:DWORD dst_unused:UNUSED_PAD src0_sel:DWORD src1_sel:BYTE_0
	ds_read_u16 v6, v0 offset:1360
	ds_read_u16 v58, v0 offset:1530
	;; [unrolled: 1-line block ×5, first 2 shown]
	ds_read_u16 v26, v1
	s_waitcnt vmcnt(0) lgkmcnt(0)
	s_barrier
	buffer_gl0_inv
	v_add3_u32 v24, v3, v4, v9
	v_mul_f16_sdwa v41, v36, v31 dst_sel:DWORD dst_unused:UNUSED_PAD src0_sel:DWORD src1_sel:WORD_1
	v_mul_f16_sdwa v3, v23, v31 dst_sel:DWORD dst_unused:UNUSED_PAD src0_sel:DWORD src1_sel:WORD_1
	;; [unrolled: 1-line block ×24, first 2 shown]
	v_fmac_f16_e32 v41, v23, v31
	v_fma_f16 v44, v36, v31, -v3
	v_fmac_f16_e32 v39, v22, v32
	v_fma_f16 v42, v38, v32, -v4
	;; [unrolled: 2-line block ×4, first 2 shown]
	v_fma_f16 v23, v55, v45, -v64
	v_fma_f16 v21, v56, v46, -v65
	;; [unrolled: 1-line block ×3, first 2 shown]
	v_fmac_f16_e32 v28, v16, v48
	v_fma_f16 v16, v6, v48, -v67
	v_fma_f16 v32, v58, v49, -v68
	;; [unrolled: 1-line block ×5, first 2 shown]
	v_fmac_f16_e32 v27, v19, v45
	v_fmac_f16_e32 v9, v18, v46
	;; [unrolled: 1-line block ×7, first 2 shown]
	v_sub_f16_e32 v4, v44, v33
	v_sub_f16_e32 v12, v42, v34
	;; [unrolled: 1-line block ×6, first 2 shown]
	v_add_f16_e32 v46, v10, v41
	v_add_f16_e32 v3, v41, v43
	;; [unrolled: 1-line block ×7, first 2 shown]
	v_mul_f16_e32 v47, 0xbbf1, v4
	v_mul_f16_e32 v48, 0xbb7b, v4
	;; [unrolled: 1-line block ×20, first 2 shown]
	v_pk_mul_f16 v4, 0xba95b770, v4 op_sel_hi:[1,0]
	v_pk_mul_f16 v12, 0xbb7bba95, v12 op_sel_hi:[1,0]
	;; [unrolled: 1-line block ×6, first 2 shown]
	v_mul_f16_e32 v68, 0xb94e, v45
	v_mul_f16_e32 v69, 0x3a95, v45
	;; [unrolled: 1-line block ×4, first 2 shown]
	v_add_f16_e32 v46, v46, v39
	v_fmamk_f16 v71, v3, 0x2fb7, v47
	v_fma_f16 v47, v3, 0x2fb7, -v47
	v_fmamk_f16 v72, v3, 0xb5ac, v48
	v_fma_f16 v48, v3, 0xb5ac, -v48
	;; [unrolled: 2-line block ×20, first 2 shown]
	v_pk_fma_f16 v91, 0x388b3b15, v3, v4 op_sel_hi:[1,0,1]
	v_pk_fma_f16 v3, 0x388b3b15, v3, v4 op_sel_hi:[1,0,1] neg_lo:[0,0,1] neg_hi:[0,0,1]
	v_pk_fma_f16 v4, 0xb5ac388b, v6, v12 op_sel_hi:[1,0,1]
	v_pk_fma_f16 v6, 0xb5ac388b, v6, v12 op_sel_hi:[1,0,1] neg_lo:[0,0,1] neg_hi:[0,0,1]
	;; [unrolled: 2-line block ×6, first 2 shown]
	v_fmamk_f16 v92, v20, 0xb9fd, v68
	v_fma_f16 v68, v20, 0xb9fd, -v68
	v_fmamk_f16 v93, v20, 0x388b, v69
	v_fma_f16 v69, v20, 0x388b, -v69
	;; [unrolled: 2-line block ×4, first 2 shown]
	v_add_f16_e32 v45, v46, v35
	v_add_f16_e32 v46, v10, v71
	;; [unrolled: 1-line block ×10, first 2 shown]
	v_add_f16_sdwa v91, v10, v91 dst_sel:DWORD dst_unused:UNUSED_PAD src0_sel:DWORD src1_sel:WORD_1
	v_pk_add_f16 v3, v10, v3 op_sel_hi:[0,1]
	v_add_f16_e32 v10, v45, v29
	v_add_f16_e32 v45, v75, v46
	;; [unrolled: 1-line block ×4, first 2 shown]
	v_pk_add_f16 v3, v6, v3
	v_add_f16_e32 v10, v10, v27
	v_add_f16_e32 v48, v52, v48
	;; [unrolled: 1-line block ×8, first 2 shown]
	v_add_f16_sdwa v4, v4, v91 dst_sel:DWORD dst_unused:UNUSED_PAD src0_sel:WORD_1 src1_sel:DWORD
	v_add_f16_e32 v10, v79, v45
	v_add_f16_e32 v6, v6, v25
	;; [unrolled: 1-line block ×11, first 2 shown]
	v_add_f16_sdwa v4, v12, v4 dst_sel:DWORD dst_unused:UNUSED_PAD src0_sel:WORD_1 src1_sel:DWORD
	v_pk_add_f16 v3, v13, v3
	v_add_f16_e32 v6, v6, v30
	v_add_f16_e32 v12, v59, v45
	;; [unrolled: 1-line block ×8, first 2 shown]
	v_add_f16_sdwa v4, v14, v4 dst_sel:DWORD dst_unused:UNUSED_PAD src0_sel:WORD_1 src1_sel:DWORD
	v_pk_add_f16 v3, v15, v3
	v_add_f16_e32 v48, v86, v51
	v_add_f16_e32 v10, v83, v10
	;; [unrolled: 1-line block ×9, first 2 shown]
	v_add_f16_sdwa v4, v17, v4 dst_sel:DWORD dst_unused:UNUSED_PAD src0_sel:WORD_1 src1_sel:DWORD
	v_pk_add_f16 v3, v18, v3
	v_add_f16_e32 v46, v90, v48
	v_add_f16_e32 v10, v87, v10
	;; [unrolled: 1-line block ×5, first 2 shown]
	v_add_f16_sdwa v19, v19, v4 dst_sel:DWORD dst_unused:UNUSED_PAD src0_sel:WORD_1 src1_sel:DWORD
	v_pk_add_f16 v4, v67, v3
	v_add_f16_e32 v3, v68, v12
	v_add_f16_e32 v12, v93, v13
	;; [unrolled: 1-line block ×9, first 2 shown]
	ds_write_b16 v24, v18 offset:34
	ds_write_b16 v24, v19 offset:68
	;; [unrolled: 1-line block ×10, first 2 shown]
	ds_write_b16_d16_hi v24, v4 offset:374
	ds_write_b16 v24, v4 offset:408
	ds_write_b16 v24, v6
	s_waitcnt lgkmcnt(0)
	s_barrier
	buffer_gl0_inv
	ds_read_u16 v6, v1
	ds_read_u16 v17, v0 offset:1496
	ds_read_u16 v12, v0 offset:1326
	;; [unrolled: 1-line block ×9, first 2 shown]
	s_and_saveexec_b32 s1, s0
	s_cbranch_execz .LBB0_16
; %bb.15:
	ds_read_u16 v4, v0 offset:1224
	ds_read_u16 v2, v0 offset:1666
	;; [unrolled: 1-line block ×3, first 2 shown]
	s_waitcnt lgkmcnt(2)
	ds_read_u16_d16_hi v4, v0 offset:782
	s_waitcnt lgkmcnt(2)
	ds_read_u16_d16_hi v2, v0 offset:2108
.LBB0_16:
	s_or_b32 exec_lo, exec_lo, s1
	v_add_f16_e32 v45, v26, v44
	v_sub_f16_e32 v39, v39, v40
	v_sub_f16_e32 v41, v41, v43
	v_add_f16_e32 v43, v42, v34
	v_add_f16_e32 v44, v44, v33
	;; [unrolled: 1-line block ×4, first 2 shown]
	v_sub_f16_e32 v35, v35, v37
	v_mul_f16_e32 v49, 0x2fb7, v43
	v_mul_f16_e32 v46, 0xbbc4, v44
	v_add_f16_e32 v38, v40, v38
	v_mul_f16_e32 v40, 0xb9fd, v44
	v_mul_f16_e32 v37, 0x2fb7, v44
	;; [unrolled: 1-line block ×4, first 2 shown]
	v_add_f16_e32 v38, v38, v31
	v_fmamk_f16 v54, v41, 0x394e, v40
	v_fmac_f16_e32 v40, 0xb94e, v41
	v_fmamk_f16 v55, v41, 0x33a8, v46
	v_mul_f16_e32 v47, 0xbbc4, v43
	v_add_f16_e32 v38, v38, v23
	v_mul_f16_e32 v48, 0xb9fd, v43
	v_fmamk_f16 v52, v41, 0x3bf1, v37
	v_fmac_f16_e32 v37, 0xbbf1, v41
	v_fmamk_f16 v53, v41, 0x3b7b, v45
	v_add_f16_e32 v38, v38, v21
	v_fmac_f16_e32 v46, 0xb3a8, v41
	v_fmamk_f16 v58, v39, 0xbbf1, v49
	v_fmac_f16_e32 v49, 0x3bf1, v39
	v_fmamk_f16 v59, v39, 0xb770, v50
	v_add_f16_e32 v38, v38, v22
	v_fmac_f16_e32 v45, 0xbb7b, v41
	;; [unrolled: 5-line block ×3, first 2 shown]
	v_add_f16_e32 v37, v26, v37
	v_add_f16_e32 v53, v26, v53
	;; [unrolled: 1-line block ×4, first 2 shown]
	v_mul_f16_e32 v51, 0xb5ac, v42
	v_fmac_f16_e32 v48, 0x394e, v39
	v_add_f16_e32 v52, v26, v52
	v_add_f16_e32 v45, v26, v45
	;; [unrolled: 1-line block ×15, first 2 shown]
	v_mul_f16_e32 v40, 0x3b15, v42
	v_fmamk_f16 v48, v35, 0xbb7b, v51
	v_mul_f16_e32 v49, 0x388b, v42
	v_add_f16_e32 v31, v31, v32
	v_add_f16_e32 v47, v58, v54
	v_fmamk_f16 v50, v35, 0xb770, v40
	v_fmac_f16_e32 v51, 0x3b7b, v35
	v_add_f16_e32 v48, v48, v52
	v_fmac_f16_e32 v40, 0x3770, v35
	v_fmamk_f16 v52, v35, 0x3a95, v49
	v_add_f16_e32 v37, v50, v37
	v_mul_f16_e32 v50, 0xb9fd, v42
	v_fmac_f16_e32 v49, 0xba95, v35
	v_sub_f16_e32 v29, v29, v30
	v_mul_f16_e32 v30, 0x3b15, v31
	v_add_f16_e32 v36, v51, v36
	v_fmamk_f16 v32, v35, 0x394e, v50
	v_add_f16_e32 v40, v40, v45
	v_add_f16_e32 v45, v52, v47
	v_fmac_f16_e32 v50, 0xb94e, v35
	v_add_f16_e32 v34, v49, v34
	v_add_f16_e32 v32, v32, v38
	v_mul_f16_e32 v38, 0x2fb7, v31
	v_fmamk_f16 v47, v29, 0xb770, v30
	v_fmac_f16_e32 v30, 0x3770, v29
	v_mul_f16_e32 v49, 0xbbc4, v31
	v_add_f16_e32 v16, v23, v16
	v_add_f16_e32 v46, v50, v46
	v_fmamk_f16 v50, v29, 0x3bf1, v38
	v_fmac_f16_e32 v38, 0xbbf1, v29
	v_add_f16_e32 v30, v30, v36
	v_fmamk_f16 v36, v29, 0xb3a8, v49
	v_mul_f16_e32 v23, 0x388b, v31
	v_sub_f16_e32 v27, v27, v28
	v_mul_f16_e32 v28, 0x388b, v16
	v_add_f16_e32 v47, v47, v48
	v_add_f16_e32 v38, v38, v40
	;; [unrolled: 1-line block ×3, first 2 shown]
	v_fmamk_f16 v40, v29, 0xba95, v23
	v_fmac_f16_e32 v23, 0x3a95, v29
	v_mul_f16_e32 v45, 0xbbc4, v16
	v_fmamk_f16 v48, v27, 0x3a95, v28
	v_add_f16_e32 v37, v50, v37
	v_add_f16_e32 v32, v40, v32
	;; [unrolled: 1-line block ×3, first 2 shown]
	v_fmac_f16_e32 v28, 0xba95, v27
	v_fmamk_f16 v40, v27, 0xb3a8, v45
	v_add_f16_e32 v46, v48, v47
	v_mul_f16_e32 v47, 0x3b15, v16
	v_fmac_f16_e32 v49, 0x33a8, v29
	v_fmac_f16_e32 v45, 0x33a8, v27
	v_add_f16_e32 v28, v28, v30
	v_add_f16_e32 v30, v40, v37
	v_pk_mul_f16 v37, 0x388b3b15, v44 op_sel_hi:[1,0]
	v_fmamk_f16 v40, v27, 0xb770, v47
	v_add_f16_e32 v34, v49, v34
	v_add_f16_e32 v38, v45, v38
	v_mul_f16_e32 v44, 0xb5ac, v16
	v_fmac_f16_e32 v47, 0x3770, v27
	v_pk_fma_f16 v45, 0xba95b770, v41, v37 op_sel_hi:[1,0,1] neg_lo:[0,1,0] neg_hi:[0,1,0]
	v_add_f16_e32 v36, v40, v36
	v_pk_mul_f16 v40, 0xb5ac388b, v43 op_sel_hi:[1,0]
	v_fmamk_f16 v43, v27, 0x3b7b, v44
	v_add_f16_e32 v34, v47, v34
	v_add_f16_e32 v47, v26, v45
	v_pk_fma_f16 v37, 0xba95b770, v41, v37 op_sel_hi:[1,0,1]
	v_pk_fma_f16 v41, 0xbb7bba95, v39, v40 op_sel_hi:[1,0,1] neg_lo:[0,1,0] neg_hi:[0,1,0]
	v_pk_mul_f16 v42, 0xbbc42fb7, v42 op_sel_hi:[1,0]
	v_add_f16_e32 v32, v43, v32
	v_add_f16_sdwa v43, v26, v45 dst_sel:DWORD dst_unused:UNUSED_PAD src0_sel:DWORD src1_sel:WORD_1
	v_pk_add_f16 v26, v26, v37 op_sel_hi:[0,1]
	v_add_f16_e32 v37, v41, v47
	v_pk_fma_f16 v39, 0xbb7bba95, v39, v40 op_sel_hi:[1,0,1]
	v_pk_fma_f16 v40, 0xb3a8bbf1, v35, v42 op_sel_hi:[1,0,1] neg_lo:[0,1,0] neg_hi:[0,1,0]
	v_pk_mul_f16 v31, 0xb9fdb5ac, v31 op_sel_hi:[1,0]
	v_add_f16_sdwa v41, v41, v43 dst_sel:DWORD dst_unused:UNUSED_PAD src0_sel:WORD_1 src1_sel:DWORD
	v_pk_fma_f16 v35, 0xb3a8bbf1, v35, v42 op_sel_hi:[1,0,1]
	v_pk_add_f16 v26, v39, v26
	v_add_f16_e32 v37, v40, v37
	v_pk_fma_f16 v39, 0x394ebb7b, v29, v31 op_sel_hi:[1,0,1] neg_lo:[0,1,0] neg_hi:[0,1,0]
	v_add_f16_e32 v21, v21, v22
	v_pk_mul_f16 v16, 0x2fb7b9fd, v16 op_sel_hi:[1,0]
	v_add_f16_sdwa v22, v40, v41 dst_sel:DWORD dst_unused:UNUSED_PAD src0_sel:WORD_1 src1_sel:DWORD
	v_pk_add_f16 v26, v35, v26
	v_add_f16_e32 v35, v39, v37
	v_pk_fma_f16 v29, 0x394ebb7b, v29, v31 op_sel_hi:[1,0,1]
	v_pk_fma_f16 v31, 0x3bf1b94e, v27, v16 op_sel_hi:[1,0,1] neg_lo:[0,1,0] neg_hi:[0,1,0]
	v_sub_f16_e32 v25, v9, v25
	v_pk_mul_f16 v9, 0x3b15bbc4, v21 op_sel_hi:[1,0]
	v_fmac_f16_e32 v44, 0xbb7b, v27
	v_add_f16_sdwa v22, v39, v22 dst_sel:DWORD dst_unused:UNUSED_PAD src0_sel:WORD_1 src1_sel:DWORD
	v_pk_add_f16 v26, v29, v26
	v_add_f16_e32 v29, v31, v35
	v_pk_fma_f16 v16, 0x3bf1b94e, v27, v16 op_sel_hi:[1,0,1]
	v_pk_fma_f16 v27, 0x3770b3a8, v25, v9 op_sel_hi:[1,0,1] neg_lo:[0,1,0] neg_hi:[0,1,0]
	v_add_f16_sdwa v22, v31, v22 dst_sel:DWORD dst_unused:UNUSED_PAD src0_sel:WORD_1 src1_sel:DWORD
	v_mul_f16_e32 v31, 0xb9fd, v21
	v_mul_f16_e32 v37, 0xb5ac, v21
	v_pk_add_f16 v16, v16, v26
	v_add_f16_e32 v26, v27, v29
	v_mul_f16_e32 v29, 0x388b, v21
	v_add_f16_sdwa v22, v27, v22 dst_sel:DWORD dst_unused:UNUSED_PAD src0_sel:WORD_1 src1_sel:DWORD
	v_mul_f16_e32 v21, 0x2fb7, v21
	v_pk_fma_f16 v9, 0x3770b3a8, v25, v9 op_sel_hi:[1,0,1]
	v_fmamk_f16 v35, v25, 0x394e, v31
	v_fmamk_f16 v27, v25, 0xba95, v29
	v_fmac_f16_e32 v31, 0xb94e, v25
	v_add_f16_e32 v23, v44, v23
	v_pk_add_f16 v16, v9, v16
	v_fmac_f16_e32 v29, 0x3a95, v25
	v_add_f16_e32 v27, v27, v30
	v_fmamk_f16 v30, v25, 0xbbf1, v21
	v_fmac_f16_e32 v21, 0x3bf1, v25
	v_add_f16_e32 v9, v31, v28
	v_fmamk_f16 v28, v25, 0x3b7b, v37
	v_fmac_f16_e32 v37, 0xbb7b, v25
	v_add_f16_e32 v25, v29, v38
	v_add_f16_e32 v23, v21, v23
	;; [unrolled: 1-line block ×6, first 2 shown]
	v_lshrrev_b32_e32 v21, 16, v16
	s_waitcnt lgkmcnt(0)
	s_barrier
	buffer_gl0_inv
	ds_write_b16 v24, v33
	ds_write_b16 v24, v26 offset:34
	ds_write_b16 v24, v22 offset:68
	;; [unrolled: 1-line block ×12, first 2 shown]
	s_waitcnt lgkmcnt(0)
	s_barrier
	buffer_gl0_inv
	ds_read_u16 v22, v1
	ds_read_u16 v28, v0 offset:1496
	ds_read_u16 v24, v0 offset:1326
	;; [unrolled: 1-line block ×9, first 2 shown]
	s_and_saveexec_b32 s1, s0
	s_cbranch_execz .LBB0_18
; %bb.17:
	ds_read_u16 v5, v0 offset:1666
	ds_read_u16 v9, v0 offset:340
	;; [unrolled: 1-line block ×4, first 2 shown]
	s_waitcnt lgkmcnt(3)
	ds_read_u16_d16_hi v5, v0 offset:2108
.LBB0_18:
	s_or_b32 exec_lo, exec_lo, s1
	s_and_saveexec_b32 s1, vcc_lo
	s_cbranch_execz .LBB0_21
; %bb.19:
	v_add_nc_u32_e32 v56, 0x55, v11
	v_mov_b32_e32 v1, 0
	v_mad_u64_u32 v[40:41], null, s2, v11, 0
	v_add_nc_u32_e32 v52, 0xdd, v11
	v_lshlrev_b32_e32 v0, 2, v56
	v_add_nc_u32_e32 v54, 0x297, v11
	v_mul_hi_u32 v57, 0x288b0129, v56
	v_add_nc_u32_e32 v53, 0x1ba, v11
	v_mad_u64_u32 v[42:43], null, s2, v52, 0
	v_lshlrev_b64 v[32:33], 2, v[0:1]
	v_lshlrev_b32_e32 v0, 2, v11
	v_mad_u64_u32 v[46:47], null, s2, v54, 0
	v_add_nc_u32_e32 v55, 0x374, v11
	v_mad_u64_u32 v[44:45], null, s2, v53, 0
	v_lshlrev_b64 v[36:37], 2, v[0:1]
	v_add_co_u32 v32, vcc_lo, s8, v32
	v_add_co_ci_u32_e32 v33, vcc_lo, s9, v33, vcc_lo
	v_mov_b32_e32 v0, v41
	v_add_co_u32 v36, vcc_lo, s8, v36
	global_load_dwordx4 v[32:35], v[32:33], off offset:816
	v_add_co_ci_u32_e32 v37, vcc_lo, s9, v37, vcc_lo
	v_mad_u64_u32 v[50:51], null, s3, v11, v[0:1]
	v_mov_b32_e32 v0, v43
	global_load_dwordx4 v[36:39], v[36:37], off offset:816
	v_mov_b32_e32 v43, v47
	v_sub_nc_u32_e32 v47, v56, v57
	v_mad_u64_u32 v[48:49], null, s2, v55, 0
	v_mad_u64_u32 v[51:52], null, s3, v52, v[0:1]
	v_lshrrev_b32_e32 v0, 1, v47
	v_mov_b32_e32 v41, v45
	v_add_co_u32 v7, vcc_lo, s12, v7
	v_mov_b32_e32 v45, v49
	v_add_nc_u32_e32 v0, v0, v57
	v_mad_u64_u32 v[52:53], null, s3, v53, v[41:42]
	v_mad_u64_u32 v[53:54], null, s3, v54, v[43:44]
	v_lshrrev_b32_e32 v0, 7, v0
	v_mad_u64_u32 v[54:55], null, s3, v55, v[45:46]
	v_mov_b32_e32 v41, v50
	v_mov_b32_e32 v43, v51
	v_mad_u32_u24 v60, 0x374, v0, v56
	v_mov_b32_e32 v45, v52
	v_mov_b32_e32 v47, v53
	v_lshlrev_b64 v[40:41], 2, v[40:41]
	v_mov_b32_e32 v49, v54
	v_mad_u64_u32 v[50:51], null, s2, v60, 0
	v_add_nc_u32_e32 v62, 0xdd, v60
	v_add_nc_u32_e32 v63, 0x1ba, v60
	;; [unrolled: 1-line block ×4, first 2 shown]
	v_add_co_ci_u32_e32 v8, vcc_lo, s13, v8, vcc_lo
	v_mad_u64_u32 v[52:53], null, s2, v62, 0
	v_mad_u64_u32 v[54:55], null, s2, v63, 0
	;; [unrolled: 1-line block ×4, first 2 shown]
	v_mov_b32_e32 v0, v51
	v_lshlrev_b64 v[42:43], 2, v[42:43]
	v_mov_b32_e32 v51, v55
	v_lshlrev_b64 v[44:45], 2, v[44:45]
	v_add_co_u32 v40, vcc_lo, v7, v40
	v_mad_u64_u32 v[60:61], null, s3, v60, v[0:1]
	v_mov_b32_e32 v0, v53
	v_mov_b32_e32 v53, v57
	;; [unrolled: 1-line block ×3, first 2 shown]
	v_add_co_ci_u32_e32 v41, vcc_lo, v8, v41, vcc_lo
	v_mad_u64_u32 v[61:62], null, s3, v62, v[0:1]
	v_mad_u64_u32 v[62:63], null, s3, v63, v[51:52]
	v_mad_u64_u32 v[63:64], null, s3, v64, v[53:54]
	v_mad_u64_u32 v[64:65], null, s3, v65, v[55:56]
	v_mov_b32_e32 v51, v60
	v_mov_b32_e32 v53, v61
	;; [unrolled: 1-line block ×3, first 2 shown]
	v_lshlrev_b64 v[46:47], 2, v[46:47]
	v_mov_b32_e32 v57, v63
	v_add_co_u32 v42, vcc_lo, v7, v42
	v_mov_b32_e32 v59, v64
	v_add_co_ci_u32_e32 v43, vcc_lo, v8, v43, vcc_lo
	v_lshlrev_b64 v[48:49], 2, v[48:49]
	v_add_co_u32 v44, vcc_lo, v7, v44
	v_add_co_ci_u32_e32 v45, vcc_lo, v8, v45, vcc_lo
	v_add_co_u32 v46, vcc_lo, v7, v46
	v_lshlrev_b64 v[50:51], 2, v[50:51]
	v_add_co_ci_u32_e32 v47, vcc_lo, v8, v47, vcc_lo
	v_add_co_u32 v48, vcc_lo, v7, v48
	v_lshlrev_b64 v[52:53], 2, v[52:53]
	v_add_co_ci_u32_e32 v49, vcc_lo, v8, v49, vcc_lo
	v_lshlrev_b64 v[54:55], 2, v[54:55]
	v_add_co_u32 v50, vcc_lo, v7, v50
	v_add_co_ci_u32_e32 v51, vcc_lo, v8, v51, vcc_lo
	v_lshlrev_b64 v[56:57], 2, v[56:57]
	v_add_co_u32 v52, vcc_lo, v7, v52
	;; [unrolled: 3-line block ×3, first 2 shown]
	v_add_co_ci_u32_e32 v55, vcc_lo, v8, v55, vcc_lo
	v_add_co_u32 v56, vcc_lo, v7, v56
	v_add_co_ci_u32_e32 v57, vcc_lo, v8, v57, vcc_lo
	v_add_co_u32 v58, vcc_lo, v7, v58
	v_add_co_ci_u32_e32 v59, vcc_lo, v8, v59, vcc_lo
	s_waitcnt vmcnt(1)
	v_mul_f16_sdwa v0, v19, v33 dst_sel:DWORD dst_unused:UNUSED_PAD src0_sel:DWORD src1_sel:WORD_1
	v_mul_f16_sdwa v60, v18, v32 dst_sel:DWORD dst_unused:UNUSED_PAD src0_sel:DWORD src1_sel:WORD_1
	;; [unrolled: 1-line block ×4, first 2 shown]
	s_waitcnt lgkmcnt(6)
	v_mul_f16_sdwa v63, v29, v33 dst_sel:DWORD dst_unused:UNUSED_PAD src0_sel:DWORD src1_sel:WORD_1
	v_mul_f16_sdwa v64, v28, v34 dst_sel:DWORD dst_unused:UNUSED_PAD src0_sel:DWORD src1_sel:WORD_1
	s_waitcnt lgkmcnt(4)
	v_mul_f16_sdwa v65, v30, v32 dst_sel:DWORD dst_unused:UNUSED_PAD src0_sel:DWORD src1_sel:WORD_1
	s_waitcnt lgkmcnt(0)
	v_mul_f16_sdwa v66, v31, v35 dst_sel:DWORD dst_unused:UNUSED_PAD src0_sel:DWORD src1_sel:WORD_1
	v_fma_f16 v0, v29, v33, -v0
	v_fma_f16 v29, v30, v32, -v60
	;; [unrolled: 1-line block ×4, first 2 shown]
	v_fmac_f16_e32 v63, v19, v33
	v_fmac_f16_e32 v64, v17, v34
	;; [unrolled: 1-line block ×4, first 2 shown]
	s_waitcnt vmcnt(0)
	v_mul_f16_sdwa v18, v13, v37 dst_sel:DWORD dst_unused:UNUSED_PAD src0_sel:DWORD src1_sel:WORD_1
	v_mul_f16_sdwa v20, v12, v38 dst_sel:DWORD dst_unused:UNUSED_PAD src0_sel:DWORD src1_sel:WORD_1
	;; [unrolled: 1-line block ×8, first 2 shown]
	v_sub_f16_e32 v35, v0, v29
	v_sub_f16_e32 v60, v28, v30
	v_add_f16_e32 v62, v29, v30
	v_sub_f16_e32 v70, v29, v30
	v_sub_f16_e32 v73, v29, v0
	v_add_f16_e32 v29, v23, v29
	v_fma_f16 v18, v25, v37, -v18
	v_fma_f16 v20, v24, v38, -v20
	v_fmac_f16_e32 v33, v13, v37
	v_fmac_f16_e32 v34, v12, v38
	v_sub_f16_e32 v68, v63, v65
	v_sub_f16_e32 v69, v64, v66
	;; [unrolled: 1-line block ×3, first 2 shown]
	v_fma_f16 v17, v26, v36, -v17
	v_fma_f16 v19, v27, v39, -v19
	v_fmac_f16_e32 v31, v14, v36
	v_fmac_f16_e32 v32, v15, v39
	v_sub_f16_e32 v67, v65, v66
	v_add_f16_e32 v71, v65, v66
	v_sub_f16_e32 v76, v65, v63
	v_add_f16_e32 v65, v10, v65
	;; [unrolled: 2-line block ×3, first 2 shown]
	v_add_f16_e32 v12, v35, v60
	v_add_f16_e32 v0, v0, v29
	;; [unrolled: 1-line block ×8, first 2 shown]
	v_sub_f16_e32 v61, v63, v64
	v_sub_f16_e32 v77, v66, v64
	v_add_f16_e32 v78, v63, v64
	v_fma_f16 v13, -0.5, v62, v23
	v_fma_f16 v15, -0.5, v71, v10
	v_add_f16_e32 v26, v63, v65
	v_sub_f16_e32 v27, v17, v18
	v_sub_f16_e32 v36, v31, v32
	v_sub_f16_e32 v38, v31, v33
	v_sub_f16_e32 v62, v17, v19
	v_sub_f16_e32 v65, v18, v17
	v_sub_f16_e32 v71, v33, v31
	v_add_f16_e32 v17, v22, v17
	v_add_f16_e32 v31, v6, v31
	;; [unrolled: 1-line block ×3, first 2 shown]
	v_fma_f16 v28, -0.5, v35, v22
	v_fma_f16 v35, -0.5, v60, v6
	v_sub_f16_e32 v37, v33, v34
	v_sub_f16_e32 v63, v18, v20
	v_fma_f16 v22, -0.5, v69, v22
	v_fma_f16 v6, -0.5, v74, v6
	;; [unrolled: 1-line block ×3, first 2 shown]
	v_add_f16_e32 v25, v76, v77
	v_fma_f16 v10, -0.5, v78, v10
	v_fmamk_f16 v75, v61, 0x3b9c, v13
	v_fmamk_f16 v76, v72, 0xbb9c, v15
	v_fmac_f16_e32 v13, 0xbb9c, v61
	v_fmac_f16_e32 v15, 0x3b9c, v72
	v_add_f16_e32 v17, v17, v18
	v_add_f16_e32 v18, v31, v33
	v_sub_f16_e32 v29, v19, v20
	v_sub_f16_e32 v39, v32, v34
	v_add_f16_e32 v0, v0, v30
	v_fmamk_f16 v30, v36, 0xbb9c, v28
	v_fmamk_f16 v31, v62, 0x3b9c, v35
	v_fmac_f16_e32 v28, 0x3b9c, v36
	v_fmac_f16_e32 v35, 0xbb9c, v62
	v_sub_f16_e32 v68, v20, v19
	v_sub_f16_e32 v73, v34, v32
	v_fmamk_f16 v33, v37, 0x3b9c, v22
	v_fmamk_f16 v60, v63, 0xbb9c, v6
	v_fmac_f16_e32 v22, 0xbb9c, v37
	v_fmac_f16_e32 v6, 0x3b9c, v63
	v_fmamk_f16 v77, v67, 0x3b9c, v23
	v_fmamk_f16 v78, v70, 0xbb9c, v10
	v_fmac_f16_e32 v23, 0xbb9c, v67
	v_fmac_f16_e32 v10, 0x3b9c, v70
	v_fmac_f16_e32 v75, 0xb8b4, v67
	v_fmac_f16_e32 v76, 0x38b4, v70
	v_fmac_f16_e32 v13, 0x38b4, v67
	v_fmac_f16_e32 v15, 0xb8b4, v70
	v_add_f16_e32 v17, v17, v20
	v_add_f16_e32 v18, v18, v34
	;; [unrolled: 1-line block ×4, first 2 shown]
	v_fmac_f16_e32 v28, 0x38b4, v37
	v_fmac_f16_e32 v35, 0xb8b4, v63
	v_add_f16_e32 v38, v65, v68
	v_add_f16_e32 v39, v71, v73
	v_fmac_f16_e32 v22, 0x38b4, v36
	v_fmac_f16_e32 v6, 0xb8b4, v62
	;; [unrolled: 1-line block ×6, first 2 shown]
	v_add_f16_e32 v26, v26, v64
	v_fmac_f16_e32 v77, 0x38b4, v61
	v_fmac_f16_e32 v78, 0xb8b4, v72
	;; [unrolled: 1-line block ×8, first 2 shown]
	v_add_f16_e32 v12, v19, v17
	v_add_f16_e32 v14, v32, v18
	v_fmac_f16_e32 v28, 0x34f2, v27
	v_fmac_f16_e32 v35, 0x34f2, v29
	v_fmac_f16_e32 v22, 0x34f2, v38
	v_fmac_f16_e32 v6, 0x34f2, v39
	v_fmac_f16_e32 v33, 0x34f2, v38
	v_fmac_f16_e32 v60, 0x34f2, v39
	v_fmac_f16_e32 v30, 0x34f2, v27
	v_fmac_f16_e32 v31, 0x34f2, v29
	v_add_f16_e32 v26, v26, v66
	v_fmac_f16_e32 v77, 0x34f2, v24
	v_fmac_f16_e32 v78, 0x34f2, v25
	;; [unrolled: 1-line block ×4, first 2 shown]
	v_pack_b32_f16 v12, v14, v12
	v_pack_b32_f16 v17, v35, v28
	;; [unrolled: 1-line block ×10, first 2 shown]
	global_store_dword v[40:41], v12, off
	global_store_dword v[42:43], v17, off
	;; [unrolled: 1-line block ×10, first 2 shown]
	s_and_b32 exec_lo, exec_lo, s0
	s_cbranch_execz .LBB0_21
; %bb.20:
	v_add_nc_u32_e32 v24, 0xaa, v11
	v_subrev_nc_u32_e32 v0, 51, v11
	v_add_nc_u32_e32 v25, 0x187, v11
	v_add_nc_u32_e32 v26, 0x264, v11
	;; [unrolled: 1-line block ×4, first 2 shown]
	v_cndmask_b32_e64 v0, v0, v24, s0
	v_mad_u64_u32 v[10:11], null, s2, v25, 0
	v_mad_u64_u32 v[17:18], null, s2, v26, 0
	v_lshlrev_b32_e32 v0, 2, v0
	v_mad_u64_u32 v[19:20], null, s2, v27, 0
	v_mad_u64_u32 v[22:23], null, s2, v28, 0
	v_lshlrev_b64 v[0:1], 2, v[0:1]
	v_mov_b32_e32 v6, v11
	v_mov_b32_e32 v11, v18
	v_lshrrev_b32_e32 v29, 16, v2
	v_mov_b32_e32 v18, v20
	v_lshrrev_b32_e32 v30, 16, v5
	v_add_co_u32 v0, vcc_lo, s8, v0
	v_add_co_ci_u32_e32 v1, vcc_lo, s9, v1, vcc_lo
	v_mov_b32_e32 v20, v23
	global_load_dwordx4 v[12:15], v[0:1], off offset:816
	v_mad_u64_u32 v[0:1], null, s2, v24, 0
	v_mad_u64_u32 v[23:24], null, s3, v24, v[1:2]
	;; [unrolled: 1-line block ×3, first 2 shown]
	v_mov_b32_e32 v1, v23
	v_lshlrev_b64 v[0:1], 2, v[0:1]
	v_add_co_u32 v0, vcc_lo, v7, v0
	v_add_co_ci_u32_e32 v1, vcc_lo, v8, v1, vcc_lo
	s_waitcnt vmcnt(0)
	v_mad_u64_u32 v[25:26], null, s3, v26, v[11:12]
	v_mad_u64_u32 v[26:27], null, s3, v27, v[18:19]
	v_mov_b32_e32 v11, v24
	v_mad_u64_u32 v[27:28], null, s3, v28, v[20:21]
	v_lshrrev_b32_e32 v28, 16, v4
	v_mov_b32_e32 v18, v25
	v_lshlrev_b64 v[10:11], 2, v[10:11]
	v_mov_b32_e32 v20, v26
	v_mul_f16_sdwa v24, v4, v13 dst_sel:DWORD dst_unused:UNUSED_PAD src0_sel:DWORD src1_sel:WORD_1
	v_mul_f16_sdwa v25, v5, v14 dst_sel:DWORD dst_unused:UNUSED_PAD src0_sel:DWORD src1_sel:WORD_1
	v_lshlrev_b64 v[17:18], 2, v[17:18]
	v_mov_b32_e32 v23, v27
	v_lshlrev_b64 v[19:20], 2, v[19:20]
	v_add_co_u32 v10, vcc_lo, v7, v10
	v_add_co_ci_u32_e32 v11, vcc_lo, v8, v11, vcc_lo
	v_lshlrev_b64 v[22:23], 2, v[22:23]
	v_add_co_u32 v17, vcc_lo, v7, v17
	v_add_co_ci_u32_e32 v18, vcc_lo, v8, v18, vcc_lo
	v_add_co_u32 v19, vcc_lo, v7, v19
	v_add_co_ci_u32_e32 v20, vcc_lo, v8, v20, vcc_lo
	;; [unrolled: 2-line block ×3, first 2 shown]
	v_mul_f16_sdwa v8, v21, v12 dst_sel:DWORD dst_unused:UNUSED_PAD src0_sel:DWORD src1_sel:WORD_1
	v_mul_f16_sdwa v22, v28, v12 dst_sel:DWORD dst_unused:UNUSED_PAD src0_sel:DWORD src1_sel:WORD_1
	;; [unrolled: 1-line block ×6, first 2 shown]
	v_fmac_f16_e32 v8, v28, v12
	v_fma_f16 v12, v21, v12, -v22
	v_fmac_f16_e32 v23, v4, v13
	v_fma_f16 v4, v16, v13, -v24
	;; [unrolled: 2-line block ×3, first 2 shown]
	v_fma_f16 v2, v30, v15, -v31
	v_fmac_f16_e32 v27, v29, v15
	v_add_f16_e32 v13, v3, v8
	v_add_f16_e32 v14, v23, v25
	;; [unrolled: 1-line block ×6, first 2 shown]
	v_sub_f16_e32 v15, v12, v2
	v_sub_f16_e32 v16, v4, v5
	;; [unrolled: 1-line block ×8, first 2 shown]
	v_add_f16_e32 v13, v13, v23
	v_fma_f16 v14, -0.5, v14, v3
	v_add_f16_e32 v4, v29, v4
	v_fma_f16 v23, -0.5, v30, v9
	v_sub_f16_e32 v22, v27, v25
	v_sub_f16_e32 v28, v25, v27
	v_fmac_f16_e32 v3, -0.5, v24
	v_fmac_f16_e32 v9, -0.5, v34
	v_sub_f16_e32 v33, v2, v5
	v_sub_f16_e32 v35, v5, v2
	v_add_f16_e32 v13, v13, v25
	v_fmamk_f16 v25, v15, 0xbb9c, v14
	v_add_f16_e32 v4, v4, v5
	v_fmamk_f16 v5, v8, 0x3b9c, v23
	v_add_f16_e32 v21, v21, v22
	v_add_f16_e32 v22, v26, v28
	v_fmamk_f16 v26, v16, 0x3b9c, v3
	v_fmamk_f16 v28, v31, 0xbb9c, v9
	v_fmac_f16_e32 v3, 0xbb9c, v16
	v_fmac_f16_e32 v9, 0x3b9c, v31
	;; [unrolled: 1-line block ×4, first 2 shown]
	v_add_f16_e32 v24, v32, v33
	v_fmac_f16_e32 v25, 0xb8b4, v16
	v_fmac_f16_e32 v5, 0x38b4, v31
	v_add_f16_e32 v12, v12, v35
	v_fmac_f16_e32 v26, 0xb8b4, v15
	v_fmac_f16_e32 v28, 0x38b4, v8
	;; [unrolled: 1-line block ×6, first 2 shown]
	v_add_f16_e32 v13, v13, v27
	v_add_f16_e32 v2, v4, v2
	v_fmac_f16_e32 v25, 0x34f2, v21
	v_fmac_f16_e32 v5, 0x34f2, v24
	;; [unrolled: 1-line block ×8, first 2 shown]
	v_pack_b32_f16 v2, v13, v2
	v_pack_b32_f16 v4, v25, v5
	;; [unrolled: 1-line block ×5, first 2 shown]
	global_store_dword v[0:1], v2, off
	global_store_dword v[10:11], v4, off
	;; [unrolled: 1-line block ×5, first 2 shown]
.LBB0_21:
	s_endpgm
	.section	.rodata,"a",@progbits
	.p2align	6, 0x0
	.amdhsa_kernel fft_rtc_back_len1105_factors_17_13_5_wgs_255_tpt_85_halfLds_half_ip_CI_sbrr_dirReg
		.amdhsa_group_segment_fixed_size 0
		.amdhsa_private_segment_fixed_size 0
		.amdhsa_kernarg_size 88
		.amdhsa_user_sgpr_count 6
		.amdhsa_user_sgpr_private_segment_buffer 1
		.amdhsa_user_sgpr_dispatch_ptr 0
		.amdhsa_user_sgpr_queue_ptr 0
		.amdhsa_user_sgpr_kernarg_segment_ptr 1
		.amdhsa_user_sgpr_dispatch_id 0
		.amdhsa_user_sgpr_flat_scratch_init 0
		.amdhsa_user_sgpr_private_segment_size 0
		.amdhsa_wavefront_size32 1
		.amdhsa_uses_dynamic_stack 0
		.amdhsa_system_sgpr_private_segment_wavefront_offset 0
		.amdhsa_system_sgpr_workgroup_id_x 1
		.amdhsa_system_sgpr_workgroup_id_y 0
		.amdhsa_system_sgpr_workgroup_id_z 0
		.amdhsa_system_sgpr_workgroup_info 0
		.amdhsa_system_vgpr_workitem_id 0
		.amdhsa_next_free_vgpr 96
		.amdhsa_next_free_sgpr 23
		.amdhsa_reserve_vcc 1
		.amdhsa_reserve_flat_scratch 0
		.amdhsa_float_round_mode_32 0
		.amdhsa_float_round_mode_16_64 0
		.amdhsa_float_denorm_mode_32 3
		.amdhsa_float_denorm_mode_16_64 3
		.amdhsa_dx10_clamp 1
		.amdhsa_ieee_mode 1
		.amdhsa_fp16_overflow 0
		.amdhsa_workgroup_processor_mode 1
		.amdhsa_memory_ordered 1
		.amdhsa_forward_progress 0
		.amdhsa_shared_vgpr_count 0
		.amdhsa_exception_fp_ieee_invalid_op 0
		.amdhsa_exception_fp_denorm_src 0
		.amdhsa_exception_fp_ieee_div_zero 0
		.amdhsa_exception_fp_ieee_overflow 0
		.amdhsa_exception_fp_ieee_underflow 0
		.amdhsa_exception_fp_ieee_inexact 0
		.amdhsa_exception_int_div_zero 0
	.end_amdhsa_kernel
	.text
.Lfunc_end0:
	.size	fft_rtc_back_len1105_factors_17_13_5_wgs_255_tpt_85_halfLds_half_ip_CI_sbrr_dirReg, .Lfunc_end0-fft_rtc_back_len1105_factors_17_13_5_wgs_255_tpt_85_halfLds_half_ip_CI_sbrr_dirReg
                                        ; -- End function
	.section	.AMDGPU.csdata,"",@progbits
; Kernel info:
; codeLenInByte = 12956
; NumSgprs: 25
; NumVgprs: 96
; ScratchSize: 0
; MemoryBound: 0
; FloatMode: 240
; IeeeMode: 1
; LDSByteSize: 0 bytes/workgroup (compile time only)
; SGPRBlocks: 3
; VGPRBlocks: 11
; NumSGPRsForWavesPerEU: 25
; NumVGPRsForWavesPerEU: 96
; Occupancy: 10
; WaveLimiterHint : 1
; COMPUTE_PGM_RSRC2:SCRATCH_EN: 0
; COMPUTE_PGM_RSRC2:USER_SGPR: 6
; COMPUTE_PGM_RSRC2:TRAP_HANDLER: 0
; COMPUTE_PGM_RSRC2:TGID_X_EN: 1
; COMPUTE_PGM_RSRC2:TGID_Y_EN: 0
; COMPUTE_PGM_RSRC2:TGID_Z_EN: 0
; COMPUTE_PGM_RSRC2:TIDIG_COMP_CNT: 0
	.text
	.p2alignl 6, 3214868480
	.fill 48, 4, 3214868480
	.type	__hip_cuid_395eb64593d637d,@object ; @__hip_cuid_395eb64593d637d
	.section	.bss,"aw",@nobits
	.globl	__hip_cuid_395eb64593d637d
__hip_cuid_395eb64593d637d:
	.byte	0                               ; 0x0
	.size	__hip_cuid_395eb64593d637d, 1

	.ident	"AMD clang version 19.0.0git (https://github.com/RadeonOpenCompute/llvm-project roc-6.4.0 25133 c7fe45cf4b819c5991fe208aaa96edf142730f1d)"
	.section	".note.GNU-stack","",@progbits
	.addrsig
	.addrsig_sym __hip_cuid_395eb64593d637d
	.amdgpu_metadata
---
amdhsa.kernels:
  - .args:
      - .actual_access:  read_only
        .address_space:  global
        .offset:         0
        .size:           8
        .value_kind:     global_buffer
      - .offset:         8
        .size:           8
        .value_kind:     by_value
      - .actual_access:  read_only
        .address_space:  global
        .offset:         16
        .size:           8
        .value_kind:     global_buffer
      - .actual_access:  read_only
        .address_space:  global
        .offset:         24
        .size:           8
        .value_kind:     global_buffer
      - .offset:         32
        .size:           8
        .value_kind:     by_value
      - .actual_access:  read_only
        .address_space:  global
        .offset:         40
        .size:           8
        .value_kind:     global_buffer
      - .actual_access:  read_only
        .address_space:  global
        .offset:         48
        .size:           8
        .value_kind:     global_buffer
      - .offset:         56
        .size:           4
        .value_kind:     by_value
      - .actual_access:  read_only
        .address_space:  global
        .offset:         64
        .size:           8
        .value_kind:     global_buffer
      - .actual_access:  read_only
        .address_space:  global
        .offset:         72
        .size:           8
        .value_kind:     global_buffer
      - .address_space:  global
        .offset:         80
        .size:           8
        .value_kind:     global_buffer
    .group_segment_fixed_size: 0
    .kernarg_segment_align: 8
    .kernarg_segment_size: 88
    .language:       OpenCL C
    .language_version:
      - 2
      - 0
    .max_flat_workgroup_size: 255
    .name:           fft_rtc_back_len1105_factors_17_13_5_wgs_255_tpt_85_halfLds_half_ip_CI_sbrr_dirReg
    .private_segment_fixed_size: 0
    .sgpr_count:     25
    .sgpr_spill_count: 0
    .symbol:         fft_rtc_back_len1105_factors_17_13_5_wgs_255_tpt_85_halfLds_half_ip_CI_sbrr_dirReg.kd
    .uniform_work_group_size: 1
    .uses_dynamic_stack: false
    .vgpr_count:     96
    .vgpr_spill_count: 0
    .wavefront_size: 32
    .workgroup_processor_mode: 1
amdhsa.target:   amdgcn-amd-amdhsa--gfx1030
amdhsa.version:
  - 1
  - 2
...

	.end_amdgpu_metadata
